;; amdgpu-corpus repo=ROCm/rocFFT kind=compiled arch=gfx1030 opt=O3
	.text
	.amdgcn_target "amdgcn-amd-amdhsa--gfx1030"
	.amdhsa_code_object_version 6
	.protected	fft_rtc_back_len408_factors_17_3_8_wgs_51_tpt_17_halfLds_sp_op_CI_CI_unitstride_sbrr_dirReg ; -- Begin function fft_rtc_back_len408_factors_17_3_8_wgs_51_tpt_17_halfLds_sp_op_CI_CI_unitstride_sbrr_dirReg
	.globl	fft_rtc_back_len408_factors_17_3_8_wgs_51_tpt_17_halfLds_sp_op_CI_CI_unitstride_sbrr_dirReg
	.p2align	8
	.type	fft_rtc_back_len408_factors_17_3_8_wgs_51_tpt_17_halfLds_sp_op_CI_CI_unitstride_sbrr_dirReg,@function
fft_rtc_back_len408_factors_17_3_8_wgs_51_tpt_17_halfLds_sp_op_CI_CI_unitstride_sbrr_dirReg: ; @fft_rtc_back_len408_factors_17_3_8_wgs_51_tpt_17_halfLds_sp_op_CI_CI_unitstride_sbrr_dirReg
; %bb.0:
	s_load_dwordx4 s[12:15], s[4:5], 0x0
	v_mul_u32_u24_e32 v1, 0xf10, v0
	s_clause 0x1
	s_load_dwordx4 s[8:11], s[4:5], 0x58
	s_load_dwordx4 s[16:19], s[4:5], 0x18
	v_mov_b32_e32 v74, 0
	v_mov_b32_e32 v75, 0
	;; [unrolled: 1-line block ×3, first 2 shown]
	v_lshrrev_b32_e32 v2, 16, v1
	v_mov_b32_e32 v1, 0
	v_mov_b32_e32 v13, v75
	v_mad_u64_u32 v[72:73], null, s6, 3, v[2:3]
	v_mov_b32_e32 v73, v1
	v_mov_b32_e32 v14, v72
	s_waitcnt lgkmcnt(0)
	v_cmp_lt_u64_e64 s0, s[14:15], 2
	v_mov_b32_e32 v15, v73
	s_and_b32 vcc_lo, exec_lo, s0
	s_cbranch_vccnz .LBB0_8
; %bb.1:
	s_load_dwordx2 s[0:1], s[4:5], 0x10
	v_mov_b32_e32 v74, 0
	v_mov_b32_e32 v75, 0
	s_add_u32 s2, s18, 8
	v_mov_b32_e32 v3, v72
	s_addc_u32 s3, s19, 0
	v_mov_b32_e32 v12, v74
	v_mov_b32_e32 v4, v73
	s_add_u32 s6, s16, 8
	v_mov_b32_e32 v13, v75
	s_addc_u32 s7, s17, 0
	s_mov_b64 s[22:23], 1
	s_waitcnt lgkmcnt(0)
	s_add_u32 s20, s0, 8
	s_addc_u32 s21, s1, 0
.LBB0_2:                                ; =>This Inner Loop Header: Depth=1
	s_load_dwordx2 s[24:25], s[20:21], 0x0
                                        ; implicit-def: $vgpr14_vgpr15
	s_mov_b32 s0, exec_lo
	s_waitcnt lgkmcnt(0)
	v_or_b32_e32 v2, s25, v4
	v_cmpx_ne_u64_e32 0, v[1:2]
	s_xor_b32 s1, exec_lo, s0
	s_cbranch_execz .LBB0_4
; %bb.3:                                ;   in Loop: Header=BB0_2 Depth=1
	v_cvt_f32_u32_e32 v2, s24
	v_cvt_f32_u32_e32 v5, s25
	s_sub_u32 s0, 0, s24
	s_subb_u32 s26, 0, s25
	v_fmac_f32_e32 v2, 0x4f800000, v5
	v_rcp_f32_e32 v2, v2
	v_mul_f32_e32 v2, 0x5f7ffffc, v2
	v_mul_f32_e32 v5, 0x2f800000, v2
	v_trunc_f32_e32 v5, v5
	v_fmac_f32_e32 v2, 0xcf800000, v5
	v_cvt_u32_f32_e32 v5, v5
	v_cvt_u32_f32_e32 v2, v2
	v_mul_lo_u32 v6, s0, v5
	v_mul_hi_u32 v7, s0, v2
	v_mul_lo_u32 v8, s26, v2
	v_add_nc_u32_e32 v6, v7, v6
	v_mul_lo_u32 v7, s0, v2
	v_add_nc_u32_e32 v6, v6, v8
	v_mul_hi_u32 v8, v2, v7
	v_mul_lo_u32 v9, v2, v6
	v_mul_hi_u32 v10, v2, v6
	v_mul_hi_u32 v11, v5, v7
	v_mul_lo_u32 v7, v5, v7
	v_mul_hi_u32 v14, v5, v6
	v_mul_lo_u32 v6, v5, v6
	v_add_co_u32 v8, vcc_lo, v8, v9
	v_add_co_ci_u32_e32 v9, vcc_lo, 0, v10, vcc_lo
	v_add_co_u32 v7, vcc_lo, v8, v7
	v_add_co_ci_u32_e32 v7, vcc_lo, v9, v11, vcc_lo
	v_add_co_ci_u32_e32 v8, vcc_lo, 0, v14, vcc_lo
	v_add_co_u32 v6, vcc_lo, v7, v6
	v_add_co_ci_u32_e32 v7, vcc_lo, 0, v8, vcc_lo
	v_add_co_u32 v2, vcc_lo, v2, v6
	v_add_co_ci_u32_e32 v5, vcc_lo, v5, v7, vcc_lo
	v_mul_hi_u32 v6, s0, v2
	v_mul_lo_u32 v8, s26, v2
	v_mul_lo_u32 v7, s0, v5
	v_add_nc_u32_e32 v6, v6, v7
	v_mul_lo_u32 v7, s0, v2
	v_add_nc_u32_e32 v6, v6, v8
	v_mul_hi_u32 v8, v2, v7
	v_mul_lo_u32 v9, v2, v6
	v_mul_hi_u32 v10, v2, v6
	v_mul_hi_u32 v11, v5, v7
	v_mul_lo_u32 v7, v5, v7
	v_mul_hi_u32 v14, v5, v6
	v_mul_lo_u32 v6, v5, v6
	v_add_co_u32 v8, vcc_lo, v8, v9
	v_add_co_ci_u32_e32 v9, vcc_lo, 0, v10, vcc_lo
	v_add_co_u32 v7, vcc_lo, v8, v7
	v_add_co_ci_u32_e32 v7, vcc_lo, v9, v11, vcc_lo
	v_add_co_ci_u32_e32 v8, vcc_lo, 0, v14, vcc_lo
	v_add_co_u32 v6, vcc_lo, v7, v6
	v_add_co_ci_u32_e32 v7, vcc_lo, 0, v8, vcc_lo
	v_add_co_u32 v2, vcc_lo, v2, v6
	v_add_co_ci_u32_e32 v9, vcc_lo, v5, v7, vcc_lo
	v_mul_hi_u32 v11, v3, v2
	v_mad_u64_u32 v[7:8], null, v4, v2, 0
	v_mad_u64_u32 v[5:6], null, v3, v9, 0
	;; [unrolled: 1-line block ×3, first 2 shown]
	v_add_co_u32 v2, vcc_lo, v11, v5
	v_add_co_ci_u32_e32 v5, vcc_lo, 0, v6, vcc_lo
	v_add_co_u32 v2, vcc_lo, v2, v7
	v_add_co_ci_u32_e32 v2, vcc_lo, v5, v8, vcc_lo
	v_add_co_ci_u32_e32 v5, vcc_lo, 0, v10, vcc_lo
	v_add_co_u32 v2, vcc_lo, v2, v9
	v_add_co_ci_u32_e32 v7, vcc_lo, 0, v5, vcc_lo
	v_mul_lo_u32 v8, s25, v2
	v_mad_u64_u32 v[5:6], null, s24, v2, 0
	v_mul_lo_u32 v9, s24, v7
	v_sub_co_u32 v5, vcc_lo, v3, v5
	v_add3_u32 v6, v6, v9, v8
	v_sub_nc_u32_e32 v8, v4, v6
	v_subrev_co_ci_u32_e64 v8, s0, s25, v8, vcc_lo
	v_add_co_u32 v9, s0, v2, 2
	v_add_co_ci_u32_e64 v10, s0, 0, v7, s0
	v_sub_co_u32 v11, s0, v5, s24
	v_sub_co_ci_u32_e32 v6, vcc_lo, v4, v6, vcc_lo
	v_subrev_co_ci_u32_e64 v8, s0, 0, v8, s0
	v_cmp_le_u32_e32 vcc_lo, s24, v11
	v_cmp_eq_u32_e64 s0, s25, v6
	v_cndmask_b32_e64 v11, 0, -1, vcc_lo
	v_cmp_le_u32_e32 vcc_lo, s25, v8
	v_cndmask_b32_e64 v14, 0, -1, vcc_lo
	v_cmp_le_u32_e32 vcc_lo, s24, v5
	;; [unrolled: 2-line block ×3, first 2 shown]
	v_cndmask_b32_e64 v15, 0, -1, vcc_lo
	v_cmp_eq_u32_e32 vcc_lo, s25, v8
	v_cndmask_b32_e64 v5, v15, v5, s0
	v_cndmask_b32_e32 v8, v14, v11, vcc_lo
	v_add_co_u32 v11, vcc_lo, v2, 1
	v_add_co_ci_u32_e32 v14, vcc_lo, 0, v7, vcc_lo
	v_cmp_ne_u32_e32 vcc_lo, 0, v8
	v_cndmask_b32_e32 v6, v14, v10, vcc_lo
	v_cndmask_b32_e32 v8, v11, v9, vcc_lo
	v_cmp_ne_u32_e32 vcc_lo, 0, v5
	v_cndmask_b32_e32 v15, v7, v6, vcc_lo
	v_cndmask_b32_e32 v14, v2, v8, vcc_lo
.LBB0_4:                                ;   in Loop: Header=BB0_2 Depth=1
	s_andn2_saveexec_b32 s0, s1
	s_cbranch_execz .LBB0_6
; %bb.5:                                ;   in Loop: Header=BB0_2 Depth=1
	v_cvt_f32_u32_e32 v2, s24
	s_sub_i32 s1, 0, s24
	v_mov_b32_e32 v15, v1
	v_rcp_iflag_f32_e32 v2, v2
	v_mul_f32_e32 v2, 0x4f7ffffe, v2
	v_cvt_u32_f32_e32 v2, v2
	v_mul_lo_u32 v5, s1, v2
	v_mul_hi_u32 v5, v2, v5
	v_add_nc_u32_e32 v2, v2, v5
	v_mul_hi_u32 v2, v3, v2
	v_mul_lo_u32 v5, v2, s24
	v_add_nc_u32_e32 v6, 1, v2
	v_sub_nc_u32_e32 v5, v3, v5
	v_subrev_nc_u32_e32 v7, s24, v5
	v_cmp_le_u32_e32 vcc_lo, s24, v5
	v_cndmask_b32_e32 v5, v5, v7, vcc_lo
	v_cndmask_b32_e32 v2, v2, v6, vcc_lo
	v_cmp_le_u32_e32 vcc_lo, s24, v5
	v_add_nc_u32_e32 v6, 1, v2
	v_cndmask_b32_e32 v14, v2, v6, vcc_lo
.LBB0_6:                                ;   in Loop: Header=BB0_2 Depth=1
	s_or_b32 exec_lo, exec_lo, s0
	v_mul_lo_u32 v2, v15, s24
	v_mul_lo_u32 v7, v14, s25
	s_load_dwordx2 s[0:1], s[6:7], 0x0
	v_mad_u64_u32 v[5:6], null, v14, s24, 0
	s_load_dwordx2 s[24:25], s[2:3], 0x0
	s_add_u32 s22, s22, 1
	s_addc_u32 s23, s23, 0
	s_add_u32 s2, s2, 8
	s_addc_u32 s3, s3, 0
	s_add_u32 s6, s6, 8
	v_add3_u32 v2, v6, v7, v2
	v_sub_co_u32 v3, vcc_lo, v3, v5
	s_addc_u32 s7, s7, 0
	s_add_u32 s20, s20, 8
	v_sub_co_ci_u32_e32 v2, vcc_lo, v4, v2, vcc_lo
	s_addc_u32 s21, s21, 0
	s_waitcnt lgkmcnt(0)
	v_mul_lo_u32 v4, s0, v2
	v_mul_lo_u32 v5, s1, v3
	v_mad_u64_u32 v[74:75], null, s0, v3, v[74:75]
	v_mul_lo_u32 v2, s24, v2
	v_mul_lo_u32 v6, s25, v3
	v_mad_u64_u32 v[12:13], null, s24, v3, v[12:13]
	v_cmp_ge_u64_e64 s0, s[22:23], s[14:15]
	v_add3_u32 v75, v5, v75, v4
	v_add3_u32 v13, v6, v13, v2
	s_and_b32 vcc_lo, exec_lo, s0
	s_cbranch_vccnz .LBB0_8
; %bb.7:                                ;   in Loop: Header=BB0_2 Depth=1
	v_mov_b32_e32 v3, v14
	v_mov_b32_e32 v4, v15
	s_branch .LBB0_2
.LBB0_8:
	s_load_dwordx2 s[0:1], s[4:5], 0x28
	v_mul_hi_u32 v2, 0xf0f0f10, v0
	s_lshl_b64 s[4:5], s[14:15], 3
                                        ; implicit-def: $sgpr6
                                        ; implicit-def: $vgpr77
	s_add_u32 s2, s18, s4
	s_addc_u32 s3, s19, s5
	s_waitcnt lgkmcnt(0)
	v_cmp_gt_u64_e32 vcc_lo, s[0:1], v[14:15]
	v_cmp_le_u64_e64 s0, s[0:1], v[14:15]
	s_and_saveexec_b32 s1, s0
	s_xor_b32 s0, exec_lo, s1
; %bb.9:
	v_mul_u32_u24_e32 v1, 17, v2
	s_mov_b32 s6, 0
                                        ; implicit-def: $vgpr2
                                        ; implicit-def: $vgpr74_vgpr75
	v_sub_nc_u32_e32 v77, v0, v1
                                        ; implicit-def: $vgpr0
; %bb.10:
	s_or_saveexec_b32 s1, s0
	s_load_dwordx2 s[2:3], s[2:3], 0x0
	v_mov_b32_e32 v21, s6
	v_mov_b32_e32 v20, s6
                                        ; implicit-def: $vgpr63
                                        ; implicit-def: $vgpr71
                                        ; implicit-def: $vgpr69
                                        ; implicit-def: $vgpr59
                                        ; implicit-def: $vgpr55
                                        ; implicit-def: $vgpr51
                                        ; implicit-def: $vgpr47
                                        ; implicit-def: $vgpr43
                                        ; implicit-def: $vgpr39
                                        ; implicit-def: $vgpr41
                                        ; implicit-def: $vgpr45
                                        ; implicit-def: $vgpr49
                                        ; implicit-def: $vgpr53
                                        ; implicit-def: $vgpr57
                                        ; implicit-def: $vgpr61
                                        ; implicit-def: $vgpr65
                                        ; implicit-def: $vgpr37
                                        ; implicit-def: $vgpr35
                                        ; implicit-def: $vgpr27
                                        ; implicit-def: $vgpr23
                                        ; implicit-def: $vgpr17
                                        ; implicit-def: $vgpr9
                                        ; implicit-def: $vgpr5
                                        ; implicit-def: $vgpr1
                                        ; implicit-def: $vgpr31
                                        ; implicit-def: $vgpr33
                                        ; implicit-def: $vgpr29
                                        ; implicit-def: $vgpr25
                                        ; implicit-def: $vgpr19
                                        ; implicit-def: $vgpr11
                                        ; implicit-def: $vgpr7
                                        ; implicit-def: $vgpr3
                                        ; implicit-def: $vgpr67
	s_xor_b32 exec_lo, exec_lo, s1
	s_cbranch_execz .LBB0_14
; %bb.11:
	s_add_u32 s4, s16, s4
	s_addc_u32 s5, s17, s5
	v_mul_u32_u24_e32 v2, 17, v2
	s_load_dwordx2 s[4:5], s[4:5], 0x0
	v_mov_b32_e32 v20, 0
	v_mov_b32_e32 v21, 0
                                        ; implicit-def: $vgpr10
                                        ; implicit-def: $vgpr18
                                        ; implicit-def: $vgpr24
                                        ; implicit-def: $vgpr28
                                        ; implicit-def: $vgpr32
                                        ; implicit-def: $vgpr30
                                        ; implicit-def: $vgpr8
                                        ; implicit-def: $vgpr16
                                        ; implicit-def: $vgpr22
                                        ; implicit-def: $vgpr26
                                        ; implicit-def: $vgpr34
                                        ; implicit-def: $vgpr36
	v_sub_nc_u32_e32 v77, v0, v2
	s_waitcnt lgkmcnt(0)
	v_mul_lo_u32 v1, s5, v14
	v_mul_lo_u32 v5, s4, v15
	v_mad_u64_u32 v[3:4], null, s4, v14, 0
	s_mov_b32 s4, exec_lo
	v_add3_u32 v4, v4, v5, v1
	v_lshlrev_b64 v[0:1], 3, v[3:4]
	v_lshlrev_b64 v[2:3], 3, v[74:75]
	v_lshlrev_b32_e32 v4, 3, v77
	v_add_co_u32 v0, s0, s8, v0
	v_add_co_ci_u32_e64 v1, s0, s9, v1, s0
	v_or_b32_e32 v5, 0x900, v4
	v_add_co_u32 v2, s0, v0, v2
	v_add_co_ci_u32_e64 v3, s0, v1, v3, s0
	v_or_b32_e32 v6, 0xc00, v4
	v_add_co_u32 v75, s0, v2, v4
	v_add_co_ci_u32_e64 v76, s0, 0, v3, s0
	v_add_co_u32 v0, s0, v2, v5
	v_add_co_ci_u32_e64 v1, s0, 0, v3, s0
	;; [unrolled: 2-line block ×3, first 2 shown]
	v_add_co_u32 v73, s0, 0x800, v75
	s_clause 0x3
	global_load_dwordx2 v[62:63], v[75:76], off
	global_load_dwordx2 v[70:71], v[75:76], off offset:192
	global_load_dwordx2 v[68:69], v[75:76], off offset:384
	;; [unrolled: 1-line block ×3, first 2 shown]
	v_add_co_ci_u32_e64 v74, s0, 0, v76, s0
	s_clause 0xc
	global_load_dwordx2 v[54:55], v[75:76], off offset:768
	global_load_dwordx2 v[50:51], v[75:76], off offset:960
	;; [unrolled: 1-line block ×10, first 2 shown]
	global_load_dwordx2 v[52:53], v[0:1], off
	global_load_dwordx2 v[66:67], v[73:74], off offset:832
	global_load_dwordx2 v[64:65], v[2:3], off
                                        ; implicit-def: $vgpr2
                                        ; implicit-def: $vgpr6
                                        ; implicit-def: $vgpr0
                                        ; implicit-def: $vgpr4
	v_cmpx_gt_u32_e32 7, v77
; %bb.12:
	s_clause 0x10
	global_load_dwordx2 v[20:21], v[75:76], off offset:136
	global_load_dwordx2 v[36:37], v[75:76], off offset:328
	;; [unrolled: 1-line block ×17, first 2 shown]
; %bb.13:
	s_or_b32 exec_lo, exec_lo, s4
.LBB0_14:
	s_or_b32 exec_lo, exec_lo, s1
	s_waitcnt vmcnt(15)
	v_add_f32_e32 v73, v62, v70
	s_waitcnt vmcnt(0)
	v_sub_f32_e32 v75, v71, v65
	v_add_f32_e32 v76, v70, v64
	v_sub_f32_e32 v79, v69, v67
	v_add_f32_e32 v78, v66, v68
	v_add_f32_e32 v73, v73, v68
	v_mul_f32_e32 v80, 0xbeb8f4ab, v75
	v_mul_f32_e32 v81, 0xbf2c7751, v75
	;; [unrolled: 1-line block ×4, first 2 shown]
	v_add_f32_e32 v73, v73, v58
	v_mul_f32_e32 v84, 0xbf763a35, v75
	v_mul_f32_e32 v85, 0xbf4c4adb, v75
	;; [unrolled: 1-line block ×4, first 2 shown]
	v_add_f32_e32 v73, v73, v54
	v_mul_f32_e32 v87, 0xbf2c7751, v79
	v_mul_f32_e32 v88, 0xbf7ee86f, v79
	v_fmamk_f32 v91, v76, 0x3f6eb680, v80
	v_fma_f32 v80, 0x3f6eb680, v76, -v80
	v_add_f32_e32 v73, v73, v50
	v_fmamk_f32 v92, v76, 0x3f3d2fb0, v81
	v_fma_f32 v81, 0x3f3d2fb0, v76, -v81
	v_mul_f32_e32 v89, 0xbf4c4adb, v79
	v_fmamk_f32 v93, v76, 0x3ee437d1, v82
	v_add_f32_e32 v73, v73, v46
	v_fma_f32 v82, 0x3ee437d1, v76, -v82
	v_fmamk_f32 v94, v76, 0x3dbcf732, v83
	v_fma_f32 v83, 0x3dbcf732, v76, -v83
	v_fmamk_f32 v95, v76, 0xbe8c1d8e, v84
	v_add_f32_e32 v73, v73, v42
	v_fma_f32 v84, 0xbe8c1d8e, v76, -v84
	v_fmamk_f32 v96, v76, 0xbf1a4643, v85
	v_fma_f32 v85, 0xbf1a4643, v76, -v85
	;; [unrolled: 5-line block ×4, first 2 shown]
	v_add_f32_e32 v80, v80, v62
	v_add_f32_e32 v73, v73, v44
	;; [unrolled: 1-line block ×3, first 2 shown]
	v_mul_hi_u32 v74, 0xaaaaaaab, v72
	v_mul_f32_e32 v90, 0xbe3c28d5, v79
	v_add_f32_e32 v91, v91, v62
	v_add_f32_e32 v73, v73, v48
	v_add_f32_e32 v92, v92, v62
	v_add_f32_e32 v93, v93, v62
	v_add_f32_e32 v82, v82, v62
	v_add_f32_e32 v94, v94, v62
	v_add_f32_e32 v73, v73, v52
	v_add_f32_e32 v83, v83, v62
	v_add_f32_e32 v95, v95, v62
	v_add_f32_e32 v84, v84, v62
	v_add_f32_e32 v96, v96, v62
	v_add_f32_e32 v73, v73, v56
	v_add_f32_e32 v85, v85, v62
	v_add_f32_e32 v97, v97, v62
	v_add_f32_e32 v86, v86, v62
	v_add_f32_e32 v98, v98, v62
	v_add_f32_e32 v62, v75, v62
	v_add_f32_e32 v75, v80, v87
	v_add_f32_e32 v80, v81, v88
	v_fma_f32 v81, 0xbf1a4643, v78, -v89
	v_lshrrev_b32_e32 v74, 1, v74
	v_add_f32_e32 v73, v73, v60
	v_fmamk_f32 v88, v78, 0xbf7ba420, v90
	v_fma_f32 v90, 0xbf7ba420, v78, -v90
	v_add_f32_e32 v81, v82, v81
	v_mul_f32_e32 v82, 0x3f763a35, v79
	v_fmamk_f32 v100, v78, 0xbf1a4643, v89
	v_lshl_add_u32 v74, v74, 1, v74
	v_add_f32_e32 v73, v73, v66
	v_mul_f32_e32 v89, 0x3f06c442, v79
	v_add_f32_e32 v83, v83, v90
	v_fmamk_f32 v90, v78, 0xbe8c1d8e, v82
	v_fma_f32 v82, 0xbe8c1d8e, v78, -v82
	v_sub_nc_u32_e32 v72, v72, v74
	v_add_f32_e32 v74, v91, v76
	v_add_f32_e32 v76, v73, v64
	;; [unrolled: 1-line block ×3, first 2 shown]
	v_fmamk_f32 v91, v78, 0xbf59a7d5, v89
	v_fma_f32 v89, 0xbf59a7d5, v78, -v89
	v_mul_f32_e32 v92, 0x3f65296c, v79
	v_mul_f32_e32 v79, 0x3eb8f4ab, v79
	v_add_f32_e32 v82, v85, v82
	v_sub_f32_e32 v85, v59, v61
	v_add_f32_e32 v87, v93, v100
	v_add_f32_e32 v88, v94, v88
	v_add_f32_e32 v91, v95, v91
	v_add_f32_e32 v84, v84, v89
	v_add_f32_e32 v89, v96, v90
	v_fmamk_f32 v90, v78, 0x3ee437d1, v92
	v_fma_f32 v92, 0x3ee437d1, v78, -v92
	v_fmamk_f32 v93, v78, 0x3f6eb680, v79
	v_add_f32_e32 v94, v58, v60
	v_mul_f32_e32 v95, 0xbf65296c, v85
	v_fma_f32 v78, 0x3f6eb680, v78, -v79
	v_add_f32_e32 v86, v86, v92
	v_add_f32_e32 v79, v98, v93
	v_mul_f32_e32 v92, 0xbf4c4adb, v85
	v_fmamk_f32 v93, v94, 0x3ee437d1, v95
	v_fma_f32 v95, 0x3ee437d1, v94, -v95
	v_add_f32_e32 v62, v62, v78
	v_mul_f32_e32 v78, 0x3e3c28d5, v85
	v_fmamk_f32 v96, v94, 0xbf1a4643, v92
	v_add_f32_e32 v74, v93, v74
	v_add_f32_e32 v75, v95, v75
	v_fma_f32 v92, 0xbf1a4643, v94, -v92
	v_fmamk_f32 v93, v94, 0xbf7ba420, v78
	v_mul_f32_e32 v95, 0x3f763a35, v85
	v_fma_f32 v78, 0xbf7ba420, v94, -v78
	v_add_f32_e32 v73, v96, v73
	v_add_f32_e32 v80, v92, v80
	;; [unrolled: 1-line block ×3, first 2 shown]
	v_mul_f32_e32 v92, 0x3f2c7751, v85
	v_fmamk_f32 v93, v94, 0xbe8c1d8e, v95
	v_add_f32_e32 v78, v78, v81
	v_fma_f32 v81, 0xbe8c1d8e, v94, -v95
	v_mul_f32_e32 v95, 0xbeb8f4ab, v85
	v_fmamk_f32 v96, v94, 0x3f3d2fb0, v92
	v_fma_f32 v92, 0x3f3d2fb0, v94, -v92
	v_add_f32_e32 v88, v93, v88
	v_add_f32_e32 v81, v81, v83
	v_fmamk_f32 v83, v94, 0x3f6eb680, v95
	v_fma_f32 v93, 0x3f6eb680, v94, -v95
	v_add_f32_e32 v84, v92, v84
	v_mul_f32_e32 v92, 0xbf7ee86f, v85
	v_mul_f32_e32 v85, 0xbf06c442, v85
	v_add_f32_e32 v83, v83, v89
	v_sub_f32_e32 v89, v55, v57
	v_add_f32_e32 v90, v97, v90
	v_add_f32_e32 v91, v96, v91
	;; [unrolled: 1-line block ×3, first 2 shown]
	v_fmamk_f32 v93, v94, 0x3dbcf732, v92
	v_fma_f32 v92, 0x3dbcf732, v94, -v92
	v_fmamk_f32 v95, v94, 0xbf59a7d5, v85
	v_add_f32_e32 v96, v54, v56
	v_mul_f32_e32 v97, 0xbf7ee86f, v89
	v_fma_f32 v85, 0xbf59a7d5, v94, -v85
	v_add_f32_e32 v90, v93, v90
	v_add_f32_e32 v86, v92, v86
	v_mul_f32_e32 v93, 0xbe3c28d5, v89
	v_fmamk_f32 v92, v96, 0x3dbcf732, v97
	v_add_f32_e32 v62, v85, v62
	v_fma_f32 v85, 0x3dbcf732, v96, -v97
	v_mul_f32_e32 v94, 0x3f763a35, v89
	v_add_f32_e32 v79, v95, v79
	v_add_f32_e32 v74, v92, v74
	v_fmamk_f32 v92, v96, 0xbf7ba420, v93
	v_fma_f32 v93, 0xbf7ba420, v96, -v93
	v_add_f32_e32 v75, v85, v75
	v_fmamk_f32 v85, v96, 0xbe8c1d8e, v94
	v_mul_f32_e32 v95, 0x3eb8f4ab, v89
	v_add_f32_e32 v73, v92, v73
	v_add_f32_e32 v80, v93, v80
	v_fma_f32 v92, 0xbe8c1d8e, v96, -v94
	v_add_f32_e32 v85, v85, v87
	v_fmamk_f32 v87, v96, 0x3f6eb680, v95
	v_mul_f32_e32 v93, 0xbf65296c, v89
	v_fma_f32 v94, 0x3f6eb680, v96, -v95
	v_add_f32_e32 v78, v92, v78
	v_mul_f32_e32 v92, 0xbf06c442, v89
	v_add_f32_e32 v87, v87, v88
	v_fmamk_f32 v88, v96, 0x3ee437d1, v93
	v_mul_f32_e32 v95, 0x3f4c4adb, v89
	v_add_f32_e32 v81, v94, v81
	v_fma_f32 v93, 0x3ee437d1, v96, -v93
	v_fmamk_f32 v94, v96, 0xbf59a7d5, v92
	v_add_f32_e32 v88, v88, v91
	v_fma_f32 v91, 0xbf59a7d5, v96, -v92
	v_fmamk_f32 v92, v96, 0xbf1a4643, v95
	v_mul_f32_e32 v89, 0x3f2c7751, v89
	v_add_f32_e32 v84, v93, v84
	v_add_f32_e32 v83, v94, v83
	;; [unrolled: 1-line block ×3, first 2 shown]
	v_sub_f32_e32 v91, v51, v53
	v_fma_f32 v93, 0xbf1a4643, v96, -v95
	v_add_f32_e32 v90, v92, v90
	v_fmamk_f32 v92, v96, 0x3f3d2fb0, v89
	v_add_f32_e32 v94, v50, v52
	v_mul_f32_e32 v95, 0xbf763a35, v91
	v_fma_f32 v89, 0x3f3d2fb0, v96, -v89
	v_add_f32_e32 v86, v93, v86
	v_add_f32_e32 v79, v92, v79
	v_mul_f32_e32 v92, 0x3f06c442, v91
	v_fmamk_f32 v93, v94, 0xbe8c1d8e, v95
	v_fma_f32 v95, 0xbe8c1d8e, v94, -v95
	v_add_f32_e32 v62, v89, v62
	v_mul_f32_e32 v89, 0x3f2c7751, v91
	v_fmamk_f32 v96, v94, 0xbf59a7d5, v92
	v_add_f32_e32 v74, v93, v74
	v_add_f32_e32 v75, v95, v75
	v_fma_f32 v92, 0xbf59a7d5, v94, -v92
	v_fmamk_f32 v93, v94, 0x3f3d2fb0, v89
	v_mul_f32_e32 v95, 0xbf65296c, v91
	v_fma_f32 v89, 0x3f3d2fb0, v94, -v89
	v_add_f32_e32 v73, v96, v73
	v_add_f32_e32 v80, v92, v80
	;; [unrolled: 1-line block ×3, first 2 shown]
	v_mul_f32_e32 v92, 0xbe3c28d5, v91
	v_fmamk_f32 v93, v94, 0x3ee437d1, v95
	v_add_f32_e32 v78, v89, v78
	v_fma_f32 v89, 0x3ee437d1, v94, -v95
	v_mul_f32_e32 v95, 0x3f7ee86f, v91
	v_fmamk_f32 v96, v94, 0xbf7ba420, v92
	v_fma_f32 v92, 0xbf7ba420, v94, -v92
	v_add_f32_e32 v87, v93, v87
	v_add_f32_e32 v81, v89, v81
	v_fmamk_f32 v89, v94, 0x3dbcf732, v95
	v_fma_f32 v93, 0x3dbcf732, v94, -v95
	v_add_f32_e32 v84, v92, v84
	v_mul_f32_e32 v92, 0xbeb8f4ab, v91
	v_add_f32_e32 v88, v96, v88
	v_add_f32_e32 v83, v89, v83
	v_mul_f32_e32 v89, 0xbf4c4adb, v91
	v_sub_f32_e32 v91, v47, v49
	v_add_f32_e32 v82, v93, v82
	v_fmamk_f32 v93, v94, 0x3f6eb680, v92
	v_fma_f32 v92, 0x3f6eb680, v94, -v92
	v_fmamk_f32 v95, v94, 0xbf1a4643, v89
	v_add_f32_e32 v96, v46, v48
	v_mul_f32_e32 v97, 0xbf4c4adb, v91
	v_fma_f32 v89, 0xbf1a4643, v94, -v89
	v_add_f32_e32 v90, v93, v90
	v_add_f32_e32 v86, v92, v86
	v_mul_f32_e32 v93, 0x3f763a35, v91
	v_fmamk_f32 v92, v96, 0xbf1a4643, v97
	v_add_f32_e32 v62, v89, v62
	v_fma_f32 v89, 0xbf1a4643, v96, -v97
	v_mul_f32_e32 v94, 0xbeb8f4ab, v91
	v_add_f32_e32 v79, v95, v79
	v_add_f32_e32 v74, v92, v74
	v_fmamk_f32 v92, v96, 0xbe8c1d8e, v93
	v_fma_f32 v93, 0xbe8c1d8e, v96, -v93
	v_add_f32_e32 v75, v89, v75
	v_fmamk_f32 v89, v96, 0x3f6eb680, v94
	v_mul_f32_e32 v95, 0xbf06c442, v91
	v_add_f32_e32 v73, v92, v73
	v_add_f32_e32 v80, v93, v80
	v_fma_f32 v92, 0x3f6eb680, v96, -v94
	v_add_f32_e32 v85, v89, v85
	v_fmamk_f32 v89, v96, 0xbf59a7d5, v95
	v_mul_f32_e32 v93, 0x3f7ee86f, v91
	v_fma_f32 v94, 0xbf59a7d5, v96, -v95
	v_add_f32_e32 v78, v92, v78
	v_mul_f32_e32 v92, 0xbf2c7751, v91
	v_add_f32_e32 v87, v89, v87
	v_fmamk_f32 v89, v96, 0x3dbcf732, v93
	v_mul_f32_e32 v95, 0xbe3c28d5, v91
	v_add_f32_e32 v81, v94, v81
	v_fma_f32 v93, 0x3dbcf732, v96, -v93
	v_fmamk_f32 v94, v96, 0x3f3d2fb0, v92
	v_add_f32_e32 v88, v89, v88
	v_fma_f32 v89, 0x3f3d2fb0, v96, -v92
	v_fmamk_f32 v92, v96, 0xbf7ba420, v95
	v_mul_f32_e32 v91, 0x3f65296c, v91
	v_add_f32_e32 v84, v93, v84
	v_add_f32_e32 v83, v94, v83
	;; [unrolled: 1-line block ×3, first 2 shown]
	v_sub_f32_e32 v89, v43, v45
	v_fma_f32 v93, 0xbf7ba420, v96, -v95
	v_add_f32_e32 v90, v92, v90
	v_fmamk_f32 v92, v96, 0x3ee437d1, v91
	v_add_f32_e32 v94, v42, v44
	v_mul_f32_e32 v95, 0xbf06c442, v89
	v_fma_f32 v91, 0x3ee437d1, v96, -v91
	v_add_f32_e32 v86, v93, v86
	v_add_f32_e32 v79, v92, v79
	v_mul_f32_e32 v92, 0x3f65296c, v89
	v_fmamk_f32 v93, v94, 0xbf59a7d5, v95
	v_fma_f32 v95, 0xbf59a7d5, v94, -v95
	v_add_f32_e32 v62, v91, v62
	v_mul_f32_e32 v91, 0xbf7ee86f, v89
	v_fmamk_f32 v96, v94, 0x3ee437d1, v92
	v_add_f32_e32 v74, v93, v74
	v_add_f32_e32 v75, v95, v75
	v_fma_f32 v92, 0x3ee437d1, v94, -v92
	v_fmamk_f32 v93, v94, 0x3dbcf732, v91
	v_mul_f32_e32 v95, 0x3f4c4adb, v89
	v_fma_f32 v91, 0x3dbcf732, v94, -v91
	v_add_f32_e32 v73, v96, v73
	v_add_f32_e32 v80, v92, v80
	;; [unrolled: 1-line block ×3, first 2 shown]
	v_mul_f32_e32 v92, 0xbeb8f4ab, v89
	v_fmamk_f32 v93, v94, 0xbf1a4643, v95
	v_add_f32_e32 v78, v91, v78
	v_fma_f32 v91, 0xbf1a4643, v94, -v95
	v_mul_f32_e32 v95, 0xbe3c28d5, v89
	v_fmamk_f32 v96, v94, 0x3f6eb680, v92
	v_fma_f32 v92, 0x3f6eb680, v94, -v92
	v_add_f32_e32 v87, v93, v87
	v_add_f32_e32 v81, v91, v81
	v_fmamk_f32 v91, v94, 0xbf7ba420, v95
	v_fma_f32 v93, 0xbf7ba420, v94, -v95
	v_add_f32_e32 v84, v92, v84
	v_mul_f32_e32 v92, 0x3f2c7751, v89
	v_mul_f32_e32 v89, 0xbf763a35, v89
	v_add_f32_e32 v83, v91, v83
	v_sub_f32_e32 v91, v39, v41
	v_add_f32_e32 v88, v96, v88
	v_add_f32_e32 v82, v93, v82
	v_fmamk_f32 v93, v94, 0x3f3d2fb0, v92
	v_fma_f32 v92, 0x3f3d2fb0, v94, -v92
	v_fmamk_f32 v95, v94, 0xbe8c1d8e, v89
	v_add_f32_e32 v96, v38, v40
	v_mul_f32_e32 v97, 0xbe3c28d5, v91
	v_fma_f32 v89, 0xbe8c1d8e, v94, -v89
	v_add_f32_e32 v90, v93, v90
	v_add_f32_e32 v86, v92, v86
	v_mul_f32_e32 v93, 0x3eb8f4ab, v91
	v_fmamk_f32 v92, v96, 0xbf7ba420, v97
	v_fma_f32 v94, 0xbf7ba420, v96, -v97
	v_add_f32_e32 v89, v89, v62
	v_mul_f32_e32 v62, 0xbf06c442, v91
	v_add_f32_e32 v79, v95, v79
	v_add_f32_e32 v74, v92, v74
	v_fmamk_f32 v92, v96, 0x3f6eb680, v93
	v_add_f32_e32 v75, v94, v75
	v_fma_f32 v93, 0x3f6eb680, v96, -v93
	v_fmamk_f32 v94, v96, 0xbf59a7d5, v62
	v_mul_f32_e32 v95, 0x3f2c7751, v91
	v_fma_f32 v62, 0xbf59a7d5, v96, -v62
	v_add_f32_e32 v92, v92, v73
	v_add_f32_e32 v80, v93, v80
	v_mul_f32_e32 v93, 0xbf4c4adb, v91
	v_fmamk_f32 v73, v96, 0x3f3d2fb0, v95
	v_add_f32_e32 v78, v62, v78
	v_mul_f32_e32 v62, 0x3f65296c, v91
	v_mul_u32_u24_e32 v72, 0x198, v72
	v_add_f32_e32 v85, v94, v85
	v_fma_f32 v94, 0x3f3d2fb0, v96, -v95
	v_add_f32_e32 v87, v73, v87
	v_fmamk_f32 v73, v96, 0xbf1a4643, v93
	v_fma_f32 v93, 0xbf1a4643, v96, -v93
	v_fmamk_f32 v95, v96, 0x3ee437d1, v62
	v_fma_f32 v62, 0x3ee437d1, v96, -v62
	v_add_f32_e32 v81, v94, v81
	v_add_f32_e32 v88, v73, v88
	;; [unrolled: 1-line block ×3, first 2 shown]
	v_mul_f32_e32 v73, 0xbf763a35, v91
	v_add_f32_e32 v82, v62, v82
	v_mul_u32_u24_e32 v93, 0x44, v77
	v_lshlrev_b32_e32 v62, 2, v72
	v_mul_f32_e32 v91, 0x3f7ee86f, v91
	v_fmamk_f32 v72, v96, 0xbe8c1d8e, v73
	v_fma_f32 v94, 0xbe8c1d8e, v96, -v73
	v_add_f32_e32 v83, v95, v83
	v_add3_u32 v73, 0, v93, v62
	v_fmamk_f32 v95, v96, 0x3dbcf732, v91
	v_fma_f32 v91, 0x3dbcf732, v96, -v91
	ds_write2_b32 v73, v76, v74 offset1:1
	ds_write2_b32 v73, v92, v85 offset0:2 offset1:3
	v_add_nc_u32_e32 v74, 17, v77
	v_add_f32_e32 v72, v72, v90
	v_add_f32_e32 v79, v95, v79
	;; [unrolled: 1-line block ×4, first 2 shown]
	ds_write2_b32 v73, v87, v88 offset0:4 offset1:5
	ds_write2_b32 v73, v83, v72 offset0:6 offset1:7
	;; [unrolled: 1-line block ×3, first 2 shown]
	v_cmp_gt_u32_e64 s0, 7, v77
	v_mul_u32_u24_e32 v72, 0x44, v74
	ds_write2_b32 v73, v86, v82 offset0:10 offset1:11
	ds_write2_b32 v73, v84, v81 offset0:12 offset1:13
	;; [unrolled: 1-line block ×3, first 2 shown]
	ds_write_b32 v73, v75 offset:64
	s_and_saveexec_b32 s1, s0
	s_cbranch_execz .LBB0_16
; %bb.15:
	v_add_f32_e32 v83, v36, v30
	v_sub_f32_e32 v79, v37, v31
	v_add_f32_e32 v86, v34, v32
	v_sub_f32_e32 v76, v35, v33
	v_add_f32_e32 v84, v26, v28
	v_mul_f32_e32 v90, 0xbf7ba420, v83
	v_sub_f32_e32 v78, v27, v29
	v_mul_f32_e32 v91, 0x3f6eb680, v86
	v_add_f32_e32 v82, v22, v24
	v_mul_f32_e32 v92, 0xbf59a7d5, v84
	v_fmamk_f32 v80, v79, 0x3e3c28d5, v90
	v_sub_f32_e32 v74, v23, v25
	v_fmamk_f32 v81, v76, 0xbeb8f4ab, v91
	v_add_f32_e32 v85, v16, v18
	v_mul_f32_e32 v93, 0x3f3d2fb0, v82
	v_add_f32_e32 v88, v20, v80
	v_fmamk_f32 v89, v78, 0x3f06c442, v92
	v_sub_f32_e32 v75, v17, v19
	v_add_f32_e32 v87, v8, v10
	v_mul_f32_e32 v95, 0xbf1a4643, v85
	v_add_f32_e32 v94, v88, v81
	v_fmamk_f32 v96, v74, 0xbf2c7751, v93
	v_sub_f32_e32 v80, v9, v11
	v_add_f32_e32 v88, v4, v6
	v_mul_f32_e32 v97, 0x3ee437d1, v87
	v_add_f32_e32 v94, v94, v89
	v_fmamk_f32 v98, v75, 0x3f4c4adb, v95
	v_fmac_f32_e32 v90, 0xbe3c28d5, v79
	v_sub_f32_e32 v81, v5, v7
	v_fmamk_f32 v99, v80, 0xbf65296c, v97
	v_add_f32_e32 v94, v94, v96
	v_mul_f32_e32 v96, 0xbe8c1d8e, v88
	v_fmac_f32_e32 v91, 0x3eb8f4ab, v76
	v_add_f32_e32 v90, v20, v90
	v_add_f32_e32 v89, v0, v2
	;; [unrolled: 1-line block ×3, first 2 shown]
	v_mul_f32_e32 v98, 0xbf59a7d5, v83
	v_fmamk_f32 v100, v81, 0x3f763a35, v96
	v_fmac_f32_e32 v92, 0xbf06c442, v78
	v_add_f32_e32 v90, v90, v91
	v_add_f32_e32 v91, v94, v99
	v_mul_f32_e32 v99, 0x3ee437d1, v86
	v_fmamk_f32 v101, v79, 0x3f06c442, v98
	v_mul_f32_e32 v94, 0x3dbcf732, v89
	v_add_f32_e32 v92, v90, v92
	v_add_f32_e32 v91, v91, v100
	v_fmac_f32_e32 v93, 0x3f2c7751, v74
	v_sub_f32_e32 v90, v1, v3
	v_add_f32_e32 v100, v20, v101
	v_fmamk_f32 v101, v76, 0xbf65296c, v99
	v_mul_f32_e32 v102, 0x3dbcf732, v84
	v_add_f32_e32 v92, v92, v93
	v_fmac_f32_e32 v95, 0xbf4c4adb, v75
	v_fmamk_f32 v93, v90, 0xbf7ee86f, v94
	v_add_f32_e32 v100, v100, v101
	v_fmamk_f32 v101, v78, 0x3f7ee86f, v102
	v_mul_f32_e32 v103, 0xbf1a4643, v82
	v_add_f32_e32 v92, v92, v95
	v_fmac_f32_e32 v97, 0x3f65296c, v80
	v_add_f32_e32 v91, v91, v93
	v_add_f32_e32 v93, v100, v101
	v_fmamk_f32 v95, v74, 0xbf4c4adb, v103
	v_mul_f32_e32 v100, 0x3f6eb680, v85
	v_add_f32_e32 v92, v92, v97
	v_fmac_f32_e32 v98, 0xbf06c442, v79
	v_fmac_f32_e32 v96, 0xbf763a35, v81
	v_add_f32_e32 v93, v93, v95
	v_fmamk_f32 v95, v75, 0x3eb8f4ab, v100
	v_mul_f32_e32 v97, 0xbf7ba420, v87
	v_add_f32_e32 v98, v20, v98
	v_fmac_f32_e32 v99, 0x3f65296c, v76
	v_add_f32_e32 v92, v92, v96
	v_add_f32_e32 v93, v93, v95
	v_fmamk_f32 v95, v80, 0x3e3c28d5, v97
	v_mul_f32_e32 v96, 0x3f3d2fb0, v88
	v_add_f32_e32 v98, v98, v99
	v_fmac_f32_e32 v102, 0xbf7ee86f, v78
	v_fmac_f32_e32 v94, 0x3f7ee86f, v90
	v_add_f32_e32 v93, v93, v95
	v_fmamk_f32 v95, v81, 0xbf2c7751, v96
	v_mul_f32_e32 v99, 0xbf1a4643, v83
	v_add_f32_e32 v98, v98, v102
	v_fmac_f32_e32 v103, 0x3f4c4adb, v74
	v_add_f32_e32 v92, v92, v94
	v_add_f32_e32 v93, v93, v95
	v_fmamk_f32 v94, v79, 0x3f4c4adb, v99
	v_mul_f32_e32 v95, 0xbe8c1d8e, v86
	v_add_f32_e32 v98, v98, v103
	v_fmac_f32_e32 v100, 0xbeb8f4ab, v75
	v_mul_f32_e32 v101, 0xbe8c1d8e, v89
	v_add_f32_e32 v94, v20, v94
	v_fmamk_f32 v102, v76, 0xbf763a35, v95
	v_mul_f32_e32 v103, 0x3f6eb680, v84
	v_add_f32_e32 v98, v98, v100
	v_fmac_f32_e32 v97, 0xbe3c28d5, v80
	v_fmamk_f32 v100, v90, 0x3f763a35, v101
	v_add_f32_e32 v94, v94, v102
	v_fmamk_f32 v102, v78, 0x3eb8f4ab, v103
	v_mul_f32_e32 v104, 0xbf59a7d5, v82
	v_add_f32_e32 v97, v98, v97
	v_fmac_f32_e32 v96, 0x3f2c7751, v81
	v_add_f32_e32 v93, v93, v100
	v_add_f32_e32 v94, v94, v102
	v_fmamk_f32 v98, v74, 0x3f06c442, v104
	v_mul_f32_e32 v100, 0x3dbcf732, v85
	v_add_f32_e32 v96, v97, v96
	v_fmac_f32_e32 v101, 0xbf763a35, v90
	v_fmac_f32_e32 v99, 0xbf4c4adb, v79
	v_add_f32_e32 v94, v94, v98
	v_fmamk_f32 v97, v75, 0xbf7ee86f, v100
	v_mul_f32_e32 v98, 0x3f3d2fb0, v87
	v_add_f32_e32 v96, v96, v101
	v_add_f32_e32 v99, v20, v99
	v_fmac_f32_e32 v95, 0x3f763a35, v76
	v_add_f32_e32 v94, v94, v97
	v_fmamk_f32 v97, v80, 0x3f2c7751, v98
	v_mul_f32_e32 v101, 0xbe8c1d8e, v83
	v_fmac_f32_e32 v103, 0xbeb8f4ab, v78
	v_add_f32_e32 v95, v99, v95
	v_mul_f32_e32 v99, 0xbf59a7d5, v86
	v_add_f32_e32 v94, v94, v97
	v_fmamk_f32 v97, v79, 0x3f763a35, v101
	v_fmac_f32_e32 v104, 0xbf06c442, v74
	v_add_f32_e32 v95, v95, v103
	v_fmamk_f32 v103, v76, 0xbf06c442, v99
	v_mul_f32_e32 v106, 0x3f3d2fb0, v84
	v_add_f32_e32 v97, v20, v97
	v_mul_f32_e32 v102, 0xbf7ba420, v88
	v_add_f32_e32 v95, v95, v104
	v_fmac_f32_e32 v100, 0x3f7ee86f, v75
	v_mul_f32_e32 v104, 0x3ee437d1, v82
	v_add_f32_e32 v97, v97, v103
	v_fmamk_f32 v103, v78, 0xbf2c7751, v106
	v_fmamk_f32 v105, v81, 0x3e3c28d5, v102
	v_add_f32_e32 v95, v95, v100
	v_fmac_f32_e32 v98, 0xbf2c7751, v80
	v_fmamk_f32 v100, v74, 0x3f65296c, v104
	v_add_f32_e32 v97, v97, v103
	v_mul_f32_e32 v103, 0xbf7ba420, v85
	v_add_f32_e32 v94, v94, v105
	v_mul_f32_e32 v105, 0x3ee437d1, v89
	v_add_f32_e32 v95, v95, v98
	v_fmac_f32_e32 v102, 0xbe3c28d5, v81
	v_add_f32_e32 v97, v97, v100
	v_fmamk_f32 v98, v75, 0x3e3c28d5, v103
	v_mul_f32_e32 v100, 0x3dbcf732, v87
	v_fmamk_f32 v107, v90, 0xbf65296c, v105
	v_fmac_f32_e32 v101, 0xbf763a35, v79
	v_add_f32_e32 v95, v95, v102
	v_add_f32_e32 v97, v97, v98
	v_fmamk_f32 v98, v80, 0xbf7ee86f, v100
	v_mul_f32_e32 v102, 0x3f6eb680, v88
	v_add_f32_e32 v94, v94, v107
	v_add_f32_e32 v101, v20, v101
	v_fmac_f32_e32 v99, 0x3f06c442, v76
	v_add_f32_e32 v97, v97, v98
	v_fmamk_f32 v98, v81, 0x3eb8f4ab, v102
	v_mul_f32_e32 v107, 0x3dbcf732, v83
	v_fmac_f32_e32 v105, 0x3f65296c, v90
	v_add_f32_e32 v99, v101, v99
	v_fmac_f32_e32 v106, 0x3f2c7751, v78
	v_add_f32_e32 v97, v97, v98
	v_fmamk_f32 v98, v79, 0x3f7ee86f, v107
	v_mul_f32_e32 v101, 0xbf7ba420, v86
	v_add_f32_e32 v95, v95, v105
	v_add_f32_e32 v99, v99, v106
	v_fmac_f32_e32 v104, 0xbf65296c, v74
	v_mul_f32_e32 v105, 0xbf1a4643, v89
	v_add_f32_e32 v98, v20, v98
	v_fmamk_f32 v106, v76, 0x3e3c28d5, v101
	v_mul_f32_e32 v108, 0xbe8c1d8e, v84
	v_add_f32_e32 v99, v99, v104
	v_fmac_f32_e32 v103, 0xbe3c28d5, v75
	v_fmamk_f32 v104, v90, 0x3f4c4adb, v105
	v_add_f32_e32 v98, v98, v106
	v_fmamk_f32 v106, v78, 0xbf763a35, v108
	v_mul_f32_e32 v109, 0x3f6eb680, v82
	v_add_f32_e32 v99, v99, v103
	v_fmac_f32_e32 v100, 0x3f7ee86f, v80
	v_add_f32_e32 v97, v97, v104
	v_add_f32_e32 v98, v98, v106
	v_fmamk_f32 v103, v74, 0xbeb8f4ab, v109
	v_mul_f32_e32 v104, 0x3ee437d1, v85
	v_add_f32_e32 v99, v99, v100
	v_fmac_f32_e32 v102, 0xbeb8f4ab, v81
	v_fmac_f32_e32 v107, 0xbf7ee86f, v79
	v_add_f32_e32 v98, v98, v103
	v_fmamk_f32 v100, v75, 0x3f65296c, v104
	v_mul_f32_e32 v103, 0xbf59a7d5, v87
	v_add_f32_e32 v99, v99, v102
	v_add_f32_e32 v102, v20, v107
	v_fmac_f32_e32 v101, 0xbe3c28d5, v76
	v_add_f32_e32 v98, v98, v100
	v_fmamk_f32 v100, v80, 0x3f06c442, v103
	v_mul_f32_e32 v106, 0xbf1a4643, v88
	v_fmac_f32_e32 v105, 0xbf4c4adb, v90
	v_add_f32_e32 v101, v102, v101
	v_fmac_f32_e32 v108, 0x3f763a35, v78
	v_add_f32_e32 v98, v98, v100
	v_fmamk_f32 v100, v81, 0xbf4c4adb, v106
	v_mul_f32_e32 v102, 0x3ee437d1, v83
	v_add_f32_e32 v99, v99, v105
	v_add_f32_e32 v101, v101, v108
	v_fmac_f32_e32 v109, 0x3eb8f4ab, v74
	v_add_f32_e32 v98, v98, v100
	v_fmamk_f32 v100, v79, 0x3f65296c, v102
	v_mul_f32_e32 v105, 0xbf1a4643, v86
	v_fmac_f32_e32 v104, 0xbf65296c, v75
	v_add_f32_e32 v101, v101, v109
	v_mul_f32_e32 v109, 0xbf7ba420, v84
	v_add_f32_e32 v100, v20, v100
	v_fmamk_f32 v108, v76, 0x3f4c4adb, v105
	v_mul_f32_e32 v107, 0x3f3d2fb0, v89
	v_add_f32_e32 v101, v101, v104
	v_fmac_f32_e32 v103, 0xbf06c442, v80
	v_fmamk_f32 v104, v78, 0xbe3c28d5, v109
	v_add_f32_e32 v100, v100, v108
	v_mul_f32_e32 v108, 0xbe8c1d8e, v82
	v_fmamk_f32 v110, v90, 0xbf2c7751, v107
	v_fmac_f32_e32 v102, 0xbf65296c, v79
	v_add_f32_e32 v101, v101, v103
	v_add_f32_e32 v100, v100, v104
	v_fmamk_f32 v103, v74, 0xbf763a35, v108
	v_mul_f32_e32 v104, 0x3f3d2fb0, v85
	v_add_f32_e32 v98, v98, v110
	v_add_f32_e32 v102, v20, v102
	v_fmac_f32_e32 v105, 0xbf4c4adb, v76
	v_add_f32_e32 v100, v100, v103
	v_fmamk_f32 v103, v75, 0xbf2c7751, v104
	v_mul_f32_e32 v110, 0x3f6eb680, v87
	v_fmac_f32_e32 v106, 0x3f4c4adb, v81
	v_add_f32_e32 v102, v102, v105
	v_fmac_f32_e32 v109, 0x3e3c28d5, v78
	v_add_f32_e32 v100, v100, v103
	v_fmamk_f32 v103, v80, 0x3eb8f4ab, v110
	v_mul_f32_e32 v105, 0x3dbcf732, v88
	v_add_f32_e32 v101, v101, v106
	v_add_f32_e32 v102, v102, v109
	v_fmac_f32_e32 v108, 0x3f763a35, v74
	v_fmac_f32_e32 v107, 0x3f2c7751, v90
	v_add_f32_e32 v100, v100, v103
	v_fmamk_f32 v103, v81, 0x3f7ee86f, v105
	v_mul_f32_e32 v106, 0x3f3d2fb0, v83
	v_add_f32_e32 v102, v102, v108
	v_fmac_f32_e32 v104, 0x3f2c7751, v75
	v_add_f32_e32 v101, v101, v107
	v_add_f32_e32 v100, v100, v103
	v_fmamk_f32 v103, v79, 0x3f2c7751, v106
	v_mul_f32_e32 v107, 0x3dbcf732, v86
	v_add_f32_e32 v102, v102, v104
	v_fmac_f32_e32 v110, 0xbeb8f4ab, v80
	v_mul_f32_e32 v109, 0xbf1a4643, v84
	v_add_f32_e32 v103, v20, v103
	v_fmamk_f32 v108, v76, 0x3f7ee86f, v107
	v_mul_f32_e32 v104, 0xbf59a7d5, v89
	v_add_f32_e32 v102, v102, v110
	v_fmac_f32_e32 v105, 0xbf7ee86f, v81
	v_mul_f32_e32 v111, 0xbf7ba420, v82
	v_add_f32_e32 v103, v103, v108
	v_fmamk_f32 v108, v78, 0x3f4c4adb, v109
	v_fmamk_f32 v110, v90, 0x3f06c442, v104
	v_add_f32_e32 v102, v102, v105
	v_fmac_f32_e32 v104, 0xbf06c442, v90
	v_fmac_f32_e32 v106, 0xbf2c7751, v79
	v_add_f32_e32 v103, v103, v108
	v_fmamk_f32 v105, v74, 0x3e3c28d5, v111
	v_mul_f32_e32 v108, 0xbf59a7d5, v85
	v_add_f32_e32 v102, v102, v104
	v_add_f32_e32 v104, v20, v106
	;; [unrolled: 1-line block ×4, first 2 shown]
	v_fmamk_f32 v105, v75, 0xbf06c442, v108
	v_fmac_f32_e32 v107, 0xbf7ee86f, v76
	v_fmac_f32_e32 v109, 0xbf4c4adb, v78
	;; [unrolled: 1-line block ×3, first 2 shown]
	v_mul_f32_e32 v112, 0xbe8c1d8e, v87
	v_add_f32_e32 v103, v103, v105
	v_add_f32_e32 v105, v106, v34
	v_add_f32_e32 v104, v104, v107
	v_fmac_f32_e32 v108, 0x3f06c442, v75
	v_mul_f32_e32 v83, 0x3f6eb680, v83
	v_fmamk_f32 v106, v80, 0xbf763a35, v112
	v_add_f32_e32 v105, v105, v26
	v_add_f32_e32 v104, v104, v109
	v_fmac_f32_e32 v112, 0x3f763a35, v80
	v_mul_f32_e32 v86, 0x3f3d2fb0, v86
	v_mul_f32_e32 v84, 0x3ee437d1, v84
	v_add_f32_e32 v105, v105, v22
	v_add_f32_e32 v104, v104, v111
	v_mul_f32_e32 v82, 0x3dbcf732, v82
	v_mul_f32_e32 v85, 0xbe8c1d8e, v85
	;; [unrolled: 1-line block ×3, first 2 shown]
	v_add_f32_e32 v105, v105, v16
	v_add_f32_e32 v104, v104, v108
	v_fmamk_f32 v108, v79, 0x3eb8f4ab, v83
	v_fmac_f32_e32 v83, 0xbeb8f4ab, v79
	v_add_f32_e32 v103, v103, v106
	v_add_f32_e32 v105, v105, v8
	v_add_f32_e32 v79, v104, v112
	v_fmamk_f32 v104, v76, 0x3f2c7751, v86
	v_add_f32_e32 v83, v20, v83
	v_fmac_f32_e32 v86, 0xbf2c7751, v76
	v_add_f32_e32 v105, v105, v4
	v_fmamk_f32 v76, v78, 0x3f65296c, v84
	v_fmac_f32_e32 v84, 0xbf65296c, v78
	v_add_f32_e32 v20, v20, v108
	v_add_f32_e32 v83, v83, v86
	v_add_f32_e32 v105, v105, v0
	v_fmamk_f32 v86, v74, 0x3f7ee86f, v82
	v_fmac_f32_e32 v82, 0xbf7ee86f, v74
	v_add_f32_e32 v20, v20, v104
	v_add_f32_e32 v83, v83, v84
	;; [unrolled: 1-line block ×3, first 2 shown]
	v_fmamk_f32 v106, v81, 0xbf65296c, v107
	v_mul_f32_e32 v109, 0x3f6eb680, v89
	v_add_f32_e32 v20, v20, v76
	v_fmamk_f32 v76, v75, 0x3f763a35, v85
	v_add_f32_e32 v74, v6, v78
	v_mul_f32_e32 v78, 0xbf1a4643, v87
	v_add_f32_e32 v82, v83, v82
	v_fmac_f32_e32 v85, 0xbf763a35, v75
	v_add_f32_e32 v20, v20, v86
	v_add_f32_e32 v74, v10, v74
	v_fmamk_f32 v75, v80, 0x3f4c4adb, v78
	v_mul_f32_e32 v83, 0xbf59a7d5, v88
	v_add_f32_e32 v82, v82, v85
	v_fmac_f32_e32 v78, 0xbf4c4adb, v80
	v_add_f32_e32 v74, v18, v74
	v_add_f32_e32 v20, v20, v76
	v_fmamk_f32 v76, v81, 0x3f06c442, v83
	v_mul_f32_e32 v80, 0xbf7ba420, v89
	v_add_f32_e32 v78, v82, v78
	v_add_f32_e32 v74, v24, v74
	v_fmac_f32_e32 v83, 0xbf06c442, v81
	v_fmac_f32_e32 v107, 0x3f65296c, v81
	v_add_f32_e32 v20, v20, v75
	v_fmamk_f32 v75, v90, 0x3e3c28d5, v80
	v_add_f32_e32 v74, v28, v74
	v_add_f32_e32 v78, v78, v83
	v_fmac_f32_e32 v80, 0xbe3c28d5, v90
	v_add_f32_e32 v103, v103, v106
	v_fmamk_f32 v106, v90, 0xbeb8f4ab, v109
	v_add_f32_e32 v74, v32, v74
	v_add_f32_e32 v79, v79, v107
	v_fmac_f32_e32 v109, 0x3eb8f4ab, v90
	v_add_f32_e32 v20, v20, v76
	v_add_f32_e32 v76, v78, v80
	;; [unrolled: 1-line block ×3, first 2 shown]
	v_add3_u32 v78, 0, v72, v62
	v_add_f32_e32 v79, v79, v109
	v_add_f32_e32 v80, v100, v110
	;; [unrolled: 1-line block ×4, first 2 shown]
	ds_write2_b32 v78, v74, v76 offset1:1
	ds_write2_b32 v78, v79, v102 offset0:2 offset1:3
	ds_write2_b32 v78, v101, v99 offset0:4 offset1:5
	ds_write2_b32 v78, v95, v96 offset0:6 offset1:7
	ds_write2_b32 v78, v92, v91 offset0:8 offset1:9
	ds_write2_b32 v78, v93, v94 offset0:10 offset1:11
	ds_write2_b32 v78, v97, v98 offset0:12 offset1:13
	ds_write2_b32 v78, v80, v81 offset0:14 offset1:15
	ds_write_b32 v78, v20 offset:64
.LBB0_16:
	s_or_b32 exec_lo, exec_lo, s1
	v_add_f32_e32 v20, v63, v71
	v_sub_f32_e32 v64, v70, v64
	v_add_f32_e32 v70, v71, v65
	v_sub_f32_e32 v68, v68, v66
	v_add_f32_e32 v71, v67, v69
	v_add_f32_e32 v20, v20, v69
	v_mul_f32_e32 v66, 0xbeb8f4ab, v64
	v_mul_f32_e32 v74, 0xbf65296c, v64
	;; [unrolled: 1-line block ×4, first 2 shown]
	v_add_f32_e32 v20, v20, v59
	v_mul_f32_e32 v76, 0xbf763a35, v64
	v_mul_f32_e32 v78, 0xbf4c4adb, v64
	;; [unrolled: 1-line block ×4, first 2 shown]
	v_add_f32_e32 v20, v20, v55
	v_mul_f32_e32 v80, 0xbf2c7751, v68
	v_mul_f32_e32 v82, 0xbf4c4adb, v68
	v_fma_f32 v84, 0x3f6eb680, v70, -v66
	v_fmac_f32_e32 v66, 0x3f6eb680, v70
	v_add_f32_e32 v20, v20, v51
	v_fma_f32 v86, 0x3ee437d1, v70, -v74
	v_fmac_f32_e32 v74, 0x3ee437d1, v70
	v_mul_f32_e32 v83, 0xbe3c28d5, v68
	v_fma_f32 v85, 0x3f3d2fb0, v70, -v69
	v_add_f32_e32 v20, v20, v47
	v_fmac_f32_e32 v69, 0x3f3d2fb0, v70
	v_fma_f32 v87, 0x3dbcf732, v70, -v75
	v_fmac_f32_e32 v75, 0x3dbcf732, v70
	v_fma_f32 v88, 0xbe8c1d8e, v70, -v76
	v_add_f32_e32 v20, v20, v43
	v_fmac_f32_e32 v76, 0xbe8c1d8e, v70
	v_fma_f32 v89, 0xbf1a4643, v70, -v78
	v_fmac_f32_e32 v78, 0xbf1a4643, v70
	v_fma_f32 v90, 0xbf59a7d5, v70, -v79
	v_add_f32_e32 v20, v20, v39
	v_fmac_f32_e32 v79, 0xbf59a7d5, v70
	v_fma_f32 v91, 0xbf7ba420, v70, -v64
	v_fmac_f32_e32 v64, 0xbf7ba420, v70
	v_fma_f32 v70, 0x3f3d2fb0, v71, -v80
	v_add_f32_e32 v20, v20, v41
	v_fmac_f32_e32 v80, 0x3f3d2fb0, v71
	v_fma_f32 v93, 0xbf1a4643, v71, -v82
	v_fmac_f32_e32 v82, 0xbf1a4643, v71
	v_add_f32_e32 v66, v66, v63
	v_add_f32_e32 v20, v20, v45
	;; [unrolled: 1-line block ×3, first 2 shown]
	v_fma_f32 v94, 0xbf7ba420, v71, -v83
	v_add_f32_e32 v84, v84, v63
	v_add_f32_e32 v75, v75, v63
	;; [unrolled: 1-line block ×3, first 2 shown]
	v_fmac_f32_e32 v83, 0xbf7ba420, v71
	v_mul_f32_e32 v81, 0xbf7ee86f, v68
	v_add_f32_e32 v85, v85, v63
	v_add_f32_e32 v69, v69, v63
	;; [unrolled: 1-line block ×19, first 2 shown]
	v_mul_f32_e32 v84, 0x3f65296c, v68
	v_sub_f32_e32 v58, v58, v60
	v_fma_f32 v92, 0x3dbcf732, v71, -v81
	v_add_f32_e32 v66, v20, v65
	v_add_f32_e32 v65, v74, v82
	v_mul_f32_e32 v74, 0x3f763a35, v68
	v_mul_f32_e32 v20, 0x3f06c442, v68
	;; [unrolled: 1-line block ×3, first 2 shown]
	v_fmac_f32_e32 v81, 0x3dbcf732, v71
	v_add_f32_e32 v59, v59, v61
	v_fma_f32 v83, 0xbe8c1d8e, v71, -v74
	v_fmac_f32_e32 v74, 0xbe8c1d8e, v71
	v_fma_f32 v82, 0xbf59a7d5, v71, -v20
	v_fmac_f32_e32 v20, 0xbf59a7d5, v71
	v_mul_f32_e32 v61, 0xbf65296c, v58
	v_add_f32_e32 v69, v69, v81
	v_add_f32_e32 v74, v78, v74
	v_fma_f32 v78, 0x3f6eb680, v71, -v68
	v_add_f32_e32 v20, v76, v20
	v_add_f32_e32 v76, v89, v83
	v_fma_f32 v83, 0x3ee437d1, v71, -v84
	v_fmac_f32_e32 v84, 0x3ee437d1, v71
	v_fmac_f32_e32 v68, 0x3f6eb680, v71
	v_add_f32_e32 v71, v91, v78
	v_mul_f32_e32 v78, 0xbf4c4adb, v58
	v_add_f32_e32 v60, v90, v83
	v_add_f32_e32 v79, v79, v84
	v_fma_f32 v83, 0x3ee437d1, v59, -v61
	v_fmac_f32_e32 v61, 0x3ee437d1, v59
	v_add_f32_e32 v63, v63, v68
	v_mul_f32_e32 v68, 0x3e3c28d5, v58
	v_fma_f32 v84, 0xbf1a4643, v59, -v78
	v_fmac_f32_e32 v78, 0xbf1a4643, v59
	v_add_f32_e32 v70, v85, v92
	v_add_f32_e32 v80, v86, v93
	v_add_f32_e32 v64, v83, v64
	v_add_f32_e32 v61, v61, v67
	v_fma_f32 v67, 0xbf7ba420, v59, -v68
	v_mul_f32_e32 v83, 0x3f763a35, v58
	v_fmac_f32_e32 v68, 0xbf7ba420, v59
	v_add_f32_e32 v69, v78, v69
	v_mul_f32_e32 v78, 0x3f2c7751, v58
	v_add_f32_e32 v81, v87, v94
	v_add_f32_e32 v70, v84, v70
	;; [unrolled: 1-line block ×3, first 2 shown]
	v_fma_f32 v80, 0xbe8c1d8e, v59, -v83
	v_add_f32_e32 v65, v68, v65
	v_mul_f32_e32 v68, 0xbeb8f4ab, v58
	v_fma_f32 v84, 0x3f3d2fb0, v59, -v78
	v_fmac_f32_e32 v78, 0x3f3d2fb0, v59
	v_add_f32_e32 v80, v80, v81
	v_sub_f32_e32 v54, v54, v56
	v_fma_f32 v81, 0x3f6eb680, v59, -v68
	v_fmac_f32_e32 v68, 0x3f6eb680, v59
	v_add_f32_e32 v20, v78, v20
	v_mul_f32_e32 v78, 0xbf7ee86f, v58
	v_mul_f32_e32 v58, 0xbf06c442, v58
	v_add_f32_e32 v55, v55, v57
	v_add_f32_e32 v68, v68, v74
	v_mul_f32_e32 v57, 0xbf7ee86f, v54
	v_fma_f32 v56, 0x3dbcf732, v59, -v78
	v_fma_f32 v74, 0xbf59a7d5, v59, -v58
	v_fmac_f32_e32 v58, 0xbf59a7d5, v59
	v_fmac_f32_e32 v78, 0x3dbcf732, v59
	;; [unrolled: 1-line block ×3, first 2 shown]
	v_add_f32_e32 v56, v56, v60
	v_add_f32_e32 v60, v74, v71
	v_fma_f32 v71, 0x3dbcf732, v55, -v57
	v_mul_f32_e32 v74, 0xbe3c28d5, v54
	v_add_f32_e32 v58, v58, v63
	v_fmac_f32_e32 v57, 0x3dbcf732, v55
	v_mul_f32_e32 v63, 0x3f763a35, v54
	v_add_f32_e32 v59, v78, v79
	v_add_f32_e32 v64, v71, v64
	v_fma_f32 v71, 0xbf7ba420, v55, -v74
	v_add_f32_e32 v57, v57, v61
	v_fma_f32 v61, 0xbe8c1d8e, v55, -v63
	v_mul_f32_e32 v78, 0x3eb8f4ab, v54
	v_fmac_f32_e32 v63, 0xbe8c1d8e, v55
	v_add_f32_e32 v75, v83, v75
	v_fmac_f32_e32 v74, 0xbf7ba420, v55
	v_add_f32_e32 v70, v71, v70
	v_add_f32_e32 v61, v61, v67
	v_fma_f32 v67, 0x3f6eb680, v55, -v78
	v_mul_f32_e32 v71, 0xbf65296c, v54
	v_fmac_f32_e32 v78, 0x3f6eb680, v55
	v_add_f32_e32 v63, v63, v65
	v_mul_f32_e32 v65, 0xbf06c442, v54
	v_add_f32_e32 v76, v81, v76
	v_add_f32_e32 v69, v74, v69
	v_fma_f32 v74, 0x3ee437d1, v55, -v71
	v_add_f32_e32 v75, v78, v75
	v_fmac_f32_e32 v71, 0x3ee437d1, v55
	v_fma_f32 v78, 0xbf59a7d5, v55, -v65
	v_mul_f32_e32 v79, 0x3f4c4adb, v54
	v_mul_f32_e32 v54, 0x3f2c7751, v54
	v_sub_f32_e32 v50, v50, v52
	v_add_f32_e32 v20, v71, v20
	v_add_f32_e32 v71, v78, v76
	v_fma_f32 v76, 0xbf1a4643, v55, -v79
	v_add_f32_e32 v51, v51, v53
	v_mul_f32_e32 v53, 0xbf763a35, v50
	v_fmac_f32_e32 v65, 0xbf59a7d5, v55
	v_fmac_f32_e32 v79, 0xbf1a4643, v55
	v_add_f32_e32 v52, v76, v56
	v_fma_f32 v56, 0x3f3d2fb0, v55, -v54
	v_fmac_f32_e32 v54, 0x3f3d2fb0, v55
	v_add_f32_e32 v65, v65, v68
	v_add_f32_e32 v67, v67, v80
	v_sub_f32_e32 v46, v46, v48
	v_add_f32_e32 v55, v56, v60
	v_mul_f32_e32 v56, 0x3f06c442, v50
	v_fma_f32 v60, 0xbe8c1d8e, v51, -v53
	v_fmac_f32_e32 v53, 0xbe8c1d8e, v51
	v_add_f32_e32 v54, v54, v58
	v_mul_f32_e32 v58, 0x3f2c7751, v50
	v_fma_f32 v68, 0xbf59a7d5, v51, -v56
	v_add_f32_e32 v60, v60, v64
	v_add_f32_e32 v53, v53, v57
	v_fmac_f32_e32 v56, 0xbf59a7d5, v51
	v_fma_f32 v57, 0x3f3d2fb0, v51, -v58
	v_add_f32_e32 v64, v68, v70
	v_mul_f32_e32 v68, 0xbf65296c, v50
	v_fmac_f32_e32 v58, 0x3f3d2fb0, v51
	v_add_f32_e32 v56, v56, v69
	v_add_f32_e32 v57, v57, v61
	v_mul_f32_e32 v61, 0xbe3c28d5, v50
	v_fma_f32 v69, 0x3ee437d1, v51, -v68
	v_add_f32_e32 v58, v58, v63
	v_mul_f32_e32 v63, 0x3f7ee86f, v50
	v_add_f32_e32 v59, v79, v59
	v_fma_f32 v70, 0xbf7ba420, v51, -v61
	v_fmac_f32_e32 v61, 0xbf7ba420, v51
	v_add_f32_e32 v67, v69, v67
	v_fma_f32 v69, 0x3dbcf732, v51, -v63
	v_fmac_f32_e32 v63, 0x3dbcf732, v51
	v_add_f32_e32 v47, v47, v49
	v_add_f32_e32 v20, v61, v20
	v_mul_f32_e32 v61, 0xbeb8f4ab, v50
	v_mul_f32_e32 v50, 0xbf4c4adb, v50
	v_add_f32_e32 v63, v63, v65
	v_mul_f32_e32 v49, 0xbf4c4adb, v46
	v_fmac_f32_e32 v68, 0x3ee437d1, v51
	v_fma_f32 v48, 0x3f6eb680, v51, -v61
	v_fmac_f32_e32 v61, 0x3f6eb680, v51
	v_fma_f32 v65, 0xbf1a4643, v51, -v50
	v_fmac_f32_e32 v50, 0xbf1a4643, v51
	v_sub_f32_e32 v42, v42, v44
	v_add_f32_e32 v48, v48, v52
	v_add_f32_e32 v52, v61, v59
	;; [unrolled: 1-line block ×3, first 2 shown]
	v_fma_f32 v55, 0xbf1a4643, v47, -v49
	v_mul_f32_e32 v59, 0x3f763a35, v46
	v_fmac_f32_e32 v49, 0xbf1a4643, v47
	v_add_f32_e32 v50, v50, v54
	v_mul_f32_e32 v54, 0xbeb8f4ab, v46
	v_add_f32_e32 v55, v55, v60
	v_fma_f32 v60, 0xbe8c1d8e, v47, -v59
	v_fmac_f32_e32 v59, 0xbe8c1d8e, v47
	v_add_f32_e32 v49, v49, v53
	v_fma_f32 v53, 0x3f6eb680, v47, -v54
	v_fmac_f32_e32 v54, 0x3f6eb680, v47
	v_add_f32_e32 v60, v60, v64
	v_add_f32_e32 v56, v59, v56
	v_mul_f32_e32 v59, 0x3f7ee86f, v46
	v_mul_f32_e32 v61, 0xbf06c442, v46
	v_add_f32_e32 v54, v54, v58
	v_mul_f32_e32 v58, 0xbf2c7751, v46
	v_mul_f32_e32 v44, 0x3f65296c, v46
	v_fma_f32 v64, 0x3dbcf732, v47, -v59
	v_fmac_f32_e32 v59, 0x3dbcf732, v47
	v_add_f32_e32 v43, v43, v45
	v_fma_f32 v65, 0x3f3d2fb0, v47, -v58
	v_fmac_f32_e32 v58, 0x3f3d2fb0, v47
	v_mul_f32_e32 v45, 0xbf06c442, v42
	v_add_f32_e32 v20, v59, v20
	v_mul_f32_e32 v59, 0xbe3c28d5, v46
	v_add_f32_e32 v53, v53, v57
	v_fma_f32 v57, 0xbf59a7d5, v47, -v61
	v_fmac_f32_e32 v61, 0xbf59a7d5, v47
	v_add_f32_e32 v58, v58, v63
	v_fma_f32 v46, 0xbf7ba420, v47, -v59
	v_fmac_f32_e32 v59, 0xbf7ba420, v47
	v_fma_f32 v63, 0x3ee437d1, v47, -v44
	v_fmac_f32_e32 v44, 0x3ee437d1, v47
	v_add_f32_e32 v57, v57, v67
	v_add_f32_e32 v46, v46, v48
	;; [unrolled: 1-line block ×3, first 2 shown]
	v_fma_f32 v48, 0xbf59a7d5, v43, -v45
	v_mul_f32_e32 v52, 0x3f65296c, v42
	v_fmac_f32_e32 v45, 0xbf59a7d5, v43
	v_add_f32_e32 v44, v44, v50
	v_mul_f32_e32 v50, 0xbf7ee86f, v42
	v_add_f32_e32 v48, v48, v55
	v_fma_f32 v55, 0x3ee437d1, v43, -v52
	v_fmac_f32_e32 v52, 0x3ee437d1, v43
	v_add_f32_e32 v45, v45, v49
	v_mul_f32_e32 v49, 0x3f4c4adb, v42
	v_fma_f32 v59, 0x3dbcf732, v43, -v50
	v_fmac_f32_e32 v50, 0x3dbcf732, v43
	v_add_f32_e32 v52, v52, v56
	v_add_f32_e32 v69, v69, v71
	v_fma_f32 v56, 0xbf1a4643, v43, -v49
	v_add_f32_e32 v55, v55, v60
	v_add_f32_e32 v53, v59, v53
	v_mul_f32_e32 v59, 0xbeb8f4ab, v42
	v_add_f32_e32 v50, v50, v54
	v_add_f32_e32 v54, v56, v57
	v_mul_f32_e32 v56, 0xbe3c28d5, v42
	v_mul_f32_e32 v60, 0x3f2c7751, v42
	;; [unrolled: 1-line block ×3, first 2 shown]
	v_sub_f32_e32 v38, v38, v40
	v_add_f32_e32 v82, v88, v82
	v_add_f32_e32 v68, v68, v75
	v_add_f32_e32 v65, v65, v69
	v_add_f32_e32 v51, v63, v51
	v_fma_f32 v40, 0xbe8c1d8e, v43, -v42
	v_add_f32_e32 v69, v39, v41
	v_mul_f32_e32 v39, 0xbe3c28d5, v38
	v_add_f32_e32 v82, v84, v82
	v_add_f32_e32 v61, v61, v68
	v_fmac_f32_e32 v49, 0xbf1a4643, v43
	v_fma_f32 v57, 0x3f6eb680, v43, -v59
	v_fmac_f32_e32 v59, 0x3f6eb680, v43
	v_add_f32_e32 v71, v40, v51
	v_mul_f32_e32 v40, 0x3eb8f4ab, v38
	v_fma_f32 v41, 0xbf7ba420, v69, -v39
	v_add_f32_e32 v74, v74, v82
	v_fmac_f32_e32 v42, 0xbe8c1d8e, v43
	v_add_f32_e32 v49, v49, v61
	v_fma_f32 v61, 0xbf7ba420, v43, -v56
	v_fmac_f32_e32 v56, 0xbf7ba420, v43
	v_add_f32_e32 v20, v59, v20
	v_fma_f32 v59, 0x3f3d2fb0, v43, -v60
	v_fmac_f32_e32 v60, 0x3f3d2fb0, v43
	v_fma_f32 v43, 0x3f6eb680, v69, -v40
	v_add_f32_e32 v75, v41, v48
	v_fmac_f32_e32 v40, 0x3f6eb680, v69
	v_mul_f32_e32 v41, 0x3f2c7751, v38
	v_add_f32_e32 v70, v70, v74
	v_add_f32_e32 v74, v42, v44
	v_fmac_f32_e32 v39, 0xbf7ba420, v69
	v_mul_f32_e32 v42, 0xbf06c442, v38
	v_add_f32_e32 v79, v40, v52
	v_fma_f32 v40, 0x3f3d2fb0, v69, -v41
	v_fmac_f32_e32 v41, 0x3f3d2fb0, v69
	v_add_f32_e32 v76, v39, v45
	v_fma_f32 v39, 0xbf59a7d5, v69, -v42
	v_add_f32_e32 v64, v64, v70
	v_fmac_f32_e32 v42, 0xbf59a7d5, v69
	v_add_f32_e32 v84, v41, v49
	v_lshlrev_b32_e32 v41, 2, v77
	v_add_f32_e32 v80, v39, v53
	v_mul_f32_e32 v39, 0xbf4c4adb, v38
	v_mul_f32_e32 v82, 0x3f65296c, v38
	v_add_f32_e32 v70, v60, v47
	v_add3_u32 v60, 0, v41, v62
	v_add_f32_e32 v57, v57, v64
	v_add_f32_e32 v61, v61, v65
	;; [unrolled: 1-line block ×3, first 2 shown]
	v_fma_f32 v42, 0xbf1a4643, v69, -v39
	v_add_f32_e32 v83, v40, v54
	v_fmac_f32_e32 v39, 0xbf1a4643, v69
	v_fma_f32 v40, 0x3ee437d1, v69, -v82
	v_add_nc_u32_e32 v63, 0x200, v60
	v_add_nc_u32_e32 v64, 0x400, v60
	v_add_f32_e32 v67, v56, v58
	v_add_f32_e32 v68, v59, v46
	;; [unrolled: 1-line block ×4, first 2 shown]
	v_mul_f32_e32 v86, 0xbf763a35, v38
	v_add_f32_e32 v87, v39, v20
	v_add_f32_e32 v88, v40, v61
	v_mul_f32_e32 v90, 0x3f7ee86f, v38
	s_waitcnt lgkmcnt(0)
	s_barrier
	buffer_gl0_inv
	v_add3_u32 v61, 0, v62, v41
	ds_read2_b32 v[38:39], v60 offset0:119 offset1:136
	ds_read2_b32 v[46:47], v63 offset0:127 offset1:144
	ds_read2_b32 v[44:45], v60 offset0:17 offset1:34
	ds_read2_b32 v[58:59], v60 offset0:153 offset1:170
	ds_read2_b32 v[56:57], v64 offset0:33 offset1:50
	ds_read2_b32 v[42:43], v60 offset0:51 offset1:68
	ds_read2_b32 v[54:55], v60 offset0:187 offset1:204
	ds_read2_b32 v[52:53], v64 offset0:67 offset1:84
	ds_read2_b32 v[40:41], v60 offset0:85 offset1:102
	ds_read2_b32 v[50:51], v60 offset0:221 offset1:238
	ds_read2_b32 v[48:49], v64 offset0:101 offset1:118
	ds_read_b32 v20, v61
	ds_read_b32 v65, v60 offset:1564
	v_fma_f32 v89, 0xbe8c1d8e, v69, -v86
	v_fmac_f32_e32 v86, 0xbe8c1d8e, v69
	v_fma_f32 v91, 0x3dbcf732, v69, -v90
	v_fmac_f32_e32 v90, 0x3dbcf732, v69
	v_fmac_f32_e32 v82, 0x3ee437d1, v69
	v_add_f32_e32 v68, v89, v68
	v_add_f32_e32 v69, v86, v70
	;; [unrolled: 1-line block ×5, first 2 shown]
	s_waitcnt lgkmcnt(0)
	s_barrier
	buffer_gl0_inv
	ds_write2_b32 v73, v66, v75 offset1:1
	ds_write2_b32 v73, v78, v80 offset0:2 offset1:3
	ds_write2_b32 v73, v83, v85 offset0:4 offset1:5
	;; [unrolled: 1-line block ×7, first 2 shown]
	ds_write_b32 v73, v76 offset:64
	s_and_saveexec_b32 s1, s0
	s_cbranch_execz .LBB0_18
; %bb.17:
	v_add_f32_e32 v66, v21, v37
	v_sub_f32_e32 v32, v34, v32
	v_sub_f32_e32 v30, v36, v30
	v_add_f32_e32 v36, v37, v31
	v_add_f32_e32 v37, v35, v33
	;; [unrolled: 1-line block ×3, first 2 shown]
	v_mul_f32_e32 v73, 0xbf2c7751, v32
	v_mul_f32_e32 v35, 0xbeb8f4ab, v30
	;; [unrolled: 1-line block ×4, first 2 shown]
	v_add_f32_e32 v34, v34, v27
	v_mul_f32_e32 v68, 0xbf7ee86f, v30
	v_mul_f32_e32 v69, 0xbf763a35, v30
	;; [unrolled: 1-line block ×4, first 2 shown]
	v_add_f32_e32 v34, v34, v23
	v_mul_f32_e32 v30, 0xbe3c28d5, v30
	v_fma_f32 v78, 0x3f6eb680, v36, -v35
	v_fmac_f32_e32 v35, 0x3f6eb680, v36
	v_fma_f32 v79, 0x3f3d2fb0, v36, -v66
	v_add_f32_e32 v34, v34, v17
	v_fmac_f32_e32 v66, 0x3f3d2fb0, v36
	v_fma_f32 v80, 0x3ee437d1, v36, -v67
	v_fmac_f32_e32 v67, 0x3ee437d1, v36
	v_fma_f32 v81, 0x3dbcf732, v36, -v68
	v_add_f32_e32 v34, v34, v9
	v_fmac_f32_e32 v68, 0x3dbcf732, v36
	;; [unrolled: 5-line block ×4, first 2 shown]
	v_mul_f32_e32 v75, 0xbf4c4adb, v32
	v_mul_f32_e32 v76, 0xbe3c28d5, v32
	v_fma_f32 v36, 0x3f3d2fb0, v37, -v73
	v_add_f32_e32 v34, v34, v3
	v_fmac_f32_e32 v73, 0x3f3d2fb0, v37
	v_add_f32_e32 v78, v21, v78
	v_add_f32_e32 v35, v21, v35
	;; [unrolled: 1-line block ×20, first 2 shown]
	v_fma_f32 v87, 0xbf1a4643, v37, -v75
	v_fmac_f32_e32 v75, 0xbf1a4643, v37
	v_fma_f32 v88, 0xbf7ba420, v37, -v76
	v_add_f32_e32 v34, v29, v34
	v_fmac_f32_e32 v76, 0xbf7ba420, v37
	v_mul_f32_e32 v74, 0xbf7ee86f, v32
	v_add_f32_e32 v36, v78, v36
	v_add_f32_e32 v67, v67, v75
	;; [unrolled: 1-line block ×4, first 2 shown]
	v_mul_f32_e32 v73, 0x3f763a35, v32
	v_add_f32_e32 v68, v68, v76
	v_mul_f32_e32 v78, 0x3f65296c, v32
	v_add_f32_e32 v21, v31, v21
	v_mul_f32_e32 v31, 0x3f06c442, v32
	v_fma_f32 v76, 0xbe8c1d8e, v37, -v73
	v_fmac_f32_e32 v73, 0xbe8c1d8e, v37
	v_mul_f32_e32 v32, 0x3eb8f4ab, v32
	v_sub_f32_e32 v26, v26, v28
	v_fma_f32 v75, 0xbf59a7d5, v37, -v31
	v_fmac_f32_e32 v31, 0xbf59a7d5, v37
	v_add_f32_e32 v70, v70, v73
	v_fma_f32 v73, 0x3f6eb680, v37, -v32
	v_add_f32_e32 v27, v27, v29
	v_mul_f32_e32 v29, 0xbf65296c, v26
	v_add_f32_e32 v31, v69, v31
	v_add_f32_e32 v69, v83, v76
	v_fma_f32 v76, 0x3ee437d1, v37, -v78
	v_fmac_f32_e32 v32, 0x3f6eb680, v37
	v_fma_f32 v86, 0x3dbcf732, v37, -v74
	v_fmac_f32_e32 v74, 0x3dbcf732, v37
	v_fmac_f32_e32 v78, 0x3ee437d1, v37
	v_add_f32_e32 v28, v84, v76
	v_fma_f32 v76, 0x3ee437d1, v27, -v29
	v_fmac_f32_e32 v29, 0x3ee437d1, v27
	v_add_f32_e32 v30, v30, v32
	v_mul_f32_e32 v32, 0x3e3c28d5, v26
	v_add_f32_e32 v35, v66, v74
	v_add_f32_e32 v66, v80, v87
	;; [unrolled: 1-line block ×3, first 2 shown]
	v_mul_f32_e32 v73, 0xbf4c4adb, v26
	v_add_f32_e32 v29, v33, v29
	v_fma_f32 v33, 0xbf7ba420, v27, -v32
	v_add_f32_e32 v34, v79, v86
	v_add_f32_e32 v71, v71, v78
	v_fma_f32 v78, 0xbf1a4643, v27, -v73
	v_add_f32_e32 v36, v36, v76
	v_fmac_f32_e32 v73, 0xbf1a4643, v27
	v_mul_f32_e32 v76, 0x3f763a35, v26
	v_fmac_f32_e32 v32, 0xbf7ba420, v27
	v_add_f32_e32 v33, v66, v33
	v_mul_f32_e32 v66, 0x3f2c7751, v26
	v_add_f32_e32 v74, v81, v88
	v_add_f32_e32 v34, v34, v78
	;; [unrolled: 1-line block ×3, first 2 shown]
	v_fma_f32 v73, 0xbe8c1d8e, v27, -v76
	v_add_f32_e32 v32, v67, v32
	v_mul_f32_e32 v67, 0xbeb8f4ab, v26
	v_fma_f32 v78, 0x3f3d2fb0, v27, -v66
	v_fmac_f32_e32 v66, 0x3f3d2fb0, v27
	v_add_f32_e32 v73, v74, v73
	v_sub_f32_e32 v22, v22, v24
	v_fma_f32 v74, 0x3f6eb680, v27, -v67
	v_fmac_f32_e32 v67, 0x3f6eb680, v27
	v_add_f32_e32 v31, v31, v66
	v_mul_f32_e32 v66, 0xbf7ee86f, v26
	v_mul_f32_e32 v26, 0xbf06c442, v26
	v_add_f32_e32 v23, v23, v25
	v_add_f32_e32 v67, v70, v67
	v_mul_f32_e32 v25, 0xbf7ee86f, v22
	v_fma_f32 v24, 0x3dbcf732, v27, -v66
	v_fmac_f32_e32 v66, 0x3dbcf732, v27
	v_fma_f32 v70, 0xbf59a7d5, v27, -v26
	v_fmac_f32_e32 v26, 0xbf59a7d5, v27
	v_fmac_f32_e32 v76, 0xbe8c1d8e, v27
	v_add_f32_e32 v24, v28, v24
	v_add_f32_e32 v27, v71, v66
	;; [unrolled: 1-line block ×3, first 2 shown]
	v_fma_f32 v37, 0x3dbcf732, v23, -v25
	v_mul_f32_e32 v66, 0xbe3c28d5, v22
	v_add_f32_e32 v26, v30, v26
	v_fmac_f32_e32 v25, 0x3dbcf732, v23
	v_mul_f32_e32 v30, 0x3f763a35, v22
	v_add_f32_e32 v36, v36, v37
	v_fma_f32 v37, 0xbf7ba420, v23, -v66
	v_mul_f32_e32 v70, 0x3eb8f4ab, v22
	v_add_f32_e32 v25, v29, v25
	v_fma_f32 v29, 0xbe8c1d8e, v23, -v30
	v_fmac_f32_e32 v30, 0xbe8c1d8e, v23
	v_add_f32_e32 v68, v68, v76
	v_fmac_f32_e32 v66, 0xbf7ba420, v23
	v_add_f32_e32 v34, v34, v37
	v_add_f32_e32 v29, v33, v29
	v_fma_f32 v33, 0x3f6eb680, v23, -v70
	v_mul_f32_e32 v37, 0xbf65296c, v22
	v_fmac_f32_e32 v70, 0x3f6eb680, v23
	v_add_f32_e32 v30, v32, v30
	v_mul_f32_e32 v32, 0xbf06c442, v22
	v_add_f32_e32 v69, v69, v74
	v_add_f32_e32 v35, v35, v66
	v_fma_f32 v66, 0x3ee437d1, v23, -v37
	v_add_f32_e32 v68, v68, v70
	v_fmac_f32_e32 v37, 0x3ee437d1, v23
	v_fma_f32 v70, 0xbf59a7d5, v23, -v32
	v_mul_f32_e32 v71, 0x3f4c4adb, v22
	v_mul_f32_e32 v22, 0x3f2c7751, v22
	v_sub_f32_e32 v16, v16, v18
	v_add_f32_e32 v31, v31, v37
	v_add_f32_e32 v37, v69, v70
	v_fma_f32 v69, 0xbf1a4643, v23, -v71
	v_add_f32_e32 v17, v17, v19
	v_mul_f32_e32 v19, 0xbf763a35, v16
	v_fmac_f32_e32 v32, 0xbf59a7d5, v23
	v_fmac_f32_e32 v71, 0xbf1a4643, v23
	v_add_f32_e32 v18, v24, v69
	v_fma_f32 v24, 0x3f3d2fb0, v23, -v22
	v_fmac_f32_e32 v22, 0x3f3d2fb0, v23
	v_add_f32_e32 v32, v67, v32
	v_add_f32_e32 v33, v73, v33
	v_sub_f32_e32 v8, v8, v10
	v_add_f32_e32 v23, v28, v24
	v_fma_f32 v28, 0xbe8c1d8e, v17, -v19
	v_fmac_f32_e32 v19, 0xbe8c1d8e, v17
	v_add_f32_e32 v22, v26, v22
	v_mul_f32_e32 v26, 0x3f2c7751, v16
	v_mul_f32_e32 v24, 0x3f06c442, v16
	v_add_f32_e32 v28, v36, v28
	v_add_f32_e32 v19, v25, v19
	v_mul_f32_e32 v36, 0xbf65296c, v16
	v_fma_f32 v25, 0x3f3d2fb0, v17, -v26
	v_fma_f32 v67, 0xbf59a7d5, v17, -v24
	v_fmac_f32_e32 v24, 0xbf59a7d5, v17
	v_fmac_f32_e32 v26, 0x3f3d2fb0, v17
	v_add_f32_e32 v27, v27, v71
	v_add_f32_e32 v25, v29, v25
	v_mul_f32_e32 v29, 0xbe3c28d5, v16
	v_add_f32_e32 v34, v34, v67
	v_add_f32_e32 v24, v35, v24
	v_fma_f32 v35, 0x3ee437d1, v17, -v36
	v_add_f32_e32 v26, v30, v26
	v_fmac_f32_e32 v36, 0x3ee437d1, v17
	v_mul_f32_e32 v30, 0x3f7ee86f, v16
	v_fma_f32 v67, 0xbf7ba420, v17, -v29
	v_fmac_f32_e32 v29, 0xbf7ba420, v17
	v_add_f32_e32 v33, v33, v35
	v_add_f32_e32 v35, v68, v36
	v_fma_f32 v36, 0x3dbcf732, v17, -v30
	v_fmac_f32_e32 v30, 0x3dbcf732, v17
	v_add_f32_e32 v29, v31, v29
	v_mul_f32_e32 v31, 0xbeb8f4ab, v16
	v_mul_f32_e32 v16, 0xbf4c4adb, v16
	v_add_f32_e32 v9, v9, v11
	v_add_f32_e32 v30, v32, v30
	v_mul_f32_e32 v11, 0xbf4c4adb, v8
	v_fma_f32 v10, 0x3f6eb680, v17, -v31
	v_fmac_f32_e32 v31, 0x3f6eb680, v17
	v_fma_f32 v32, 0xbf1a4643, v17, -v16
	v_fmac_f32_e32 v16, 0xbf1a4643, v17
	v_sub_f32_e32 v4, v4, v6
	v_add_f32_e32 v10, v18, v10
	v_add_f32_e32 v18, v27, v31
	;; [unrolled: 1-line block ×3, first 2 shown]
	v_fma_f32 v23, 0xbf1a4643, v9, -v11
	v_mul_f32_e32 v27, 0x3f763a35, v8
	v_fmac_f32_e32 v11, 0xbf1a4643, v9
	v_add_f32_e32 v16, v22, v16
	v_mul_f32_e32 v22, 0xbeb8f4ab, v8
	v_add_f32_e32 v23, v28, v23
	v_fma_f32 v28, 0xbe8c1d8e, v9, -v27
	v_fmac_f32_e32 v27, 0xbe8c1d8e, v9
	v_add_f32_e32 v11, v19, v11
	v_fma_f32 v19, 0x3f6eb680, v9, -v22
	v_mul_f32_e32 v31, 0xbf06c442, v8
	v_fmac_f32_e32 v22, 0x3f6eb680, v9
	v_add_f32_e32 v24, v24, v27
	v_mul_f32_e32 v27, 0x3f7ee86f, v8
	v_add_f32_e32 v19, v25, v19
	v_fma_f32 v25, 0xbf59a7d5, v9, -v31
	v_add_f32_e32 v22, v26, v22
	v_mul_f32_e32 v26, 0xbf2c7751, v8
	v_fma_f32 v32, 0x3dbcf732, v9, -v27
	v_fmac_f32_e32 v27, 0x3dbcf732, v9
	v_add_f32_e32 v25, v33, v25
	v_mul_f32_e32 v6, 0x3f65296c, v8
	v_fma_f32 v33, 0x3f3d2fb0, v9, -v26
	v_fmac_f32_e32 v26, 0x3f3d2fb0, v9
	v_add_f32_e32 v27, v29, v27
	v_mul_f32_e32 v29, 0xbe3c28d5, v8
	v_add_f32_e32 v5, v5, v7
	v_mul_f32_e32 v7, 0xbf06c442, v4
	v_fmac_f32_e32 v31, 0xbf59a7d5, v9
	v_add_f32_e32 v26, v30, v26
	v_fma_f32 v8, 0xbf7ba420, v9, -v29
	v_fmac_f32_e32 v29, 0xbf7ba420, v9
	v_fma_f32 v30, 0x3ee437d1, v9, -v6
	v_fmac_f32_e32 v6, 0x3ee437d1, v9
	v_add_f32_e32 v28, v34, v28
	v_add_f32_e32 v8, v10, v8
	;; [unrolled: 1-line block ×3, first 2 shown]
	v_fma_f32 v10, 0xbf59a7d5, v5, -v7
	v_mul_f32_e32 v18, 0x3f65296c, v4
	v_fmac_f32_e32 v7, 0xbf59a7d5, v5
	v_add_f32_e32 v6, v16, v6
	v_mul_f32_e32 v16, 0xbf7ee86f, v4
	v_add_f32_e32 v10, v23, v10
	v_fma_f32 v23, 0x3ee437d1, v5, -v18
	v_fmac_f32_e32 v18, 0x3ee437d1, v5
	v_add_f32_e32 v7, v11, v7
	v_mul_f32_e32 v11, 0x3f4c4adb, v4
	v_fma_f32 v29, 0x3dbcf732, v5, -v16
	v_add_f32_e32 v23, v28, v23
	v_add_f32_e32 v18, v24, v18
	v_fmac_f32_e32 v16, 0x3dbcf732, v5
	v_fma_f32 v24, 0xbf1a4643, v5, -v11
	v_mul_f32_e32 v28, 0xbeb8f4ab, v4
	v_add_f32_e32 v75, v82, v75
	v_add_f32_e32 v19, v19, v29
	;; [unrolled: 1-line block ×4, first 2 shown]
	v_fma_f32 v25, 0x3f6eb680, v5, -v28
	v_fmac_f32_e32 v28, 0x3f6eb680, v5
	v_mul_f32_e32 v29, 0x3f2c7751, v4
	v_add_f32_e32 v75, v75, v78
	v_mul_f32_e32 v24, 0xbe3c28d5, v4
	v_mul_f32_e32 v4, 0xbf763a35, v4
	v_add_f32_e32 v27, v27, v28
	v_fma_f32 v28, 0x3f3d2fb0, v5, -v29
	v_sub_f32_e32 v0, v0, v2
	v_fmac_f32_e32 v29, 0x3f3d2fb0, v5
	v_add_f32_e32 v66, v75, v66
	v_add_f32_e32 v17, v17, v30
	v_fmac_f32_e32 v11, 0xbf1a4643, v5
	v_fma_f32 v30, 0xbf7ba420, v5, -v24
	v_fmac_f32_e32 v24, 0xbf7ba420, v5
	v_add_f32_e32 v2, v8, v28
	v_fma_f32 v8, 0xbe8c1d8e, v5, -v4
	v_add_f32_e32 v1, v1, v3
	v_mul_f32_e32 v3, 0xbe3c28d5, v0
	v_fmac_f32_e32 v4, 0xbe8c1d8e, v5
	v_add_f32_e32 v5, v9, v29
	v_mul_f32_e32 v9, 0x3eb8f4ab, v0
	v_add_f32_e32 v66, v66, v67
	v_add_f32_e32 v24, v26, v24
	;; [unrolled: 1-line block ×3, first 2 shown]
	v_fma_f32 v17, 0xbf7ba420, v1, -v3
	v_add_f32_e32 v4, v6, v4
	v_fmac_f32_e32 v3, 0xbf7ba420, v1
	v_fma_f32 v6, 0x3f6eb680, v1, -v9
	v_mul_f32_e32 v26, 0xbf06c442, v0
	v_fmac_f32_e32 v9, 0x3f6eb680, v1
	v_add_f32_e32 v31, v35, v31
	v_add_f32_e32 v32, v66, v32
	v_add_f32_e32 v10, v10, v17
	v_add_f32_e32 v3, v7, v3
	v_fma_f32 v7, 0xbf59a7d5, v1, -v26
	v_mul_f32_e32 v17, 0x3f2c7751, v0
	v_add_f32_e32 v9, v18, v9
	v_mul_f32_e32 v18, 0xbf4c4adb, v0
	v_fmac_f32_e32 v26, 0xbf59a7d5, v1
	v_add_f32_e32 v36, v37, v36
	v_add_f32_e32 v11, v31, v11
	v_add_f32_e32 v25, v32, v25
	v_add_f32_e32 v6, v23, v6
	v_add_f32_e32 v7, v19, v7
	v_fma_f32 v19, 0x3f3d2fb0, v1, -v17
	v_fmac_f32_e32 v17, 0x3f3d2fb0, v1
	v_fma_f32 v23, 0xbf1a4643, v1, -v18
	v_add_f32_e32 v16, v16, v26
	v_mul_f32_e32 v26, 0x3f65296c, v0
	v_add_f32_e32 v33, v36, v33
	v_add_f32_e32 v11, v11, v17
	;; [unrolled: 1-line block ×3, first 2 shown]
	v_mul_f32_e32 v23, 0xbf763a35, v0
	v_add_f32_e32 v19, v22, v19
	v_fma_f32 v22, 0x3ee437d1, v1, -v26
	v_fmac_f32_e32 v26, 0x3ee437d1, v1
	v_mul_f32_e32 v0, 0x3f7ee86f, v0
	v_add_f32_e32 v30, v33, v30
	v_fma_f32 v25, 0xbe8c1d8e, v1, -v23
	v_fmac_f32_e32 v18, 0xbf1a4643, v1
	v_add_f32_e32 v24, v24, v26
	v_fma_f32 v26, 0x3dbcf732, v1, -v0
	v_fmac_f32_e32 v0, 0x3dbcf732, v1
	v_fmac_f32_e32 v23, 0xbe8c1d8e, v1
	v_add3_u32 v1, 0, v72, v62
	v_add_f32_e32 v22, v30, v22
	v_add_f32_e32 v2, v2, v25
	;; [unrolled: 1-line block ×6, first 2 shown]
	ds_write2_b32 v1, v21, v10 offset1:1
	ds_write2_b32 v1, v6, v7 offset0:2 offset1:3
	ds_write2_b32 v1, v19, v17 offset0:4 offset1:5
	;; [unrolled: 1-line block ×7, first 2 shown]
	ds_write_b32 v1, v3 offset:64
.LBB0_18:
	s_or_b32 exec_lo, exec_lo, s1
	v_lshlrev_b32_e32 v16, 1, v77
	v_mov_b32_e32 v17, 0
	v_add_nc_u16 v4, v77, 51
	v_add_nc_u16 v5, v77, 0x44
	;; [unrolled: 1-line block ×4, first 2 shown]
	v_lshlrev_b64 v[0:1], 3, v[16:17]
	v_add_nc_u32_e32 v16, 34, v77
	v_add_nc_u16 v25, v77, 0x77
	v_and_b32_e32 v7, 0xff, v4
	v_and_b32_e32 v9, 0xff, v5
	;; [unrolled: 1-line block ×6, first 2 shown]
	v_mul_lo_u16 v7, 0xf1, v7
	v_add_co_u32 v0, s0, s12, v0
	v_mul_lo_u16 v6, 0xf1, v6
	v_mul_lo_u16 v9, 0xf1, v9
	;; [unrolled: 1-line block ×4, first 2 shown]
	v_add_co_ci_u32_e64 v1, s0, s13, v1, s0
	v_lshrrev_b16 v6, 12, v6
	v_mul_lo_u16 v21, 0xf1, v21
	v_lshrrev_b16 v7, 12, v7
	v_lshrrev_b16 v9, 12, v9
	s_waitcnt lgkmcnt(0)
	v_mul_lo_u16 v6, v6, 17
	s_barrier
	buffer_gl0_inv
	global_load_dwordx4 v[0:3], v[0:1], off
	v_lshrrev_b16 v21, 12, v21
	v_sub_nc_u16 v37, v16, v6
	v_lshrrev_b16 v6, 12, v10
	v_lshrrev_b16 v10, 12, v11
	v_mul_lo_u16 v7, v7, 17
	v_mul_lo_u16 v9, v9, 17
	v_mov_b32_e32 v18, 4
	v_mul_lo_u16 v11, v6, 17
	v_mul_lo_u16 v22, v10, 17
	;; [unrolled: 1-line block ×3, first 2 shown]
	v_sub_nc_u16 v76, v4, v7
	v_sub_nc_u16 v88, v5, v9
	;; [unrolled: 1-line block ×4, first 2 shown]
	v_lshlrev_b32_sdwa v4, v18, v37 dst_sel:DWORD dst_unused:UNUSED_PAD src0_sel:DWORD src1_sel:BYTE_0
	v_sub_nc_u16 v91, v25, v26
	v_lshlrev_b32_sdwa v9, v18, v76 dst_sel:DWORD dst_unused:UNUSED_PAD src0_sel:DWORD src1_sel:BYTE_0
	v_lshlrev_b32_sdwa v23, v18, v88 dst_sel:DWORD dst_unused:UNUSED_PAD src0_sel:DWORD src1_sel:BYTE_0
	;; [unrolled: 1-line block ×4, first 2 shown]
	s_clause 0x1
	global_load_dwordx4 v[4:7], v4, s[12:13]
	global_load_dwordx4 v[8:11], v9, s[12:13]
	v_lshlrev_b32_sdwa v18, v18, v91 dst_sel:DWORD dst_unused:UNUSED_PAD src0_sel:DWORD src1_sel:BYTE_0
	s_clause 0x3
	global_load_dwordx4 v[21:24], v23, s[12:13]
	global_load_dwordx4 v[25:28], v19, s[12:13]
	;; [unrolled: 1-line block ×4, first 2 shown]
	ds_read2_b32 v[66:67], v60 offset0:119 offset1:136
	ds_read2_b32 v[18:19], v63 offset0:127 offset1:144
	;; [unrolled: 1-line block ×9, first 2 shown]
	v_mov_b32_e32 v92, 2
	ds_read2_b32 v[84:85], v60 offset0:221 offset1:238
	ds_read2_b32 v[86:87], v64 offset0:101 offset1:118
	ds_read_b32 v93, v61
	ds_read_b32 v94, v60 offset:1564
	s_waitcnt vmcnt(0) lgkmcnt(0)
	s_barrier
	buffer_gl0_inv
	v_lshlrev_b32_sdwa v37, v92, v37 dst_sel:DWORD dst_unused:UNUSED_PAD src0_sel:DWORD src1_sel:BYTE_0
	v_lshlrev_b32_sdwa v76, v92, v76 dst_sel:DWORD dst_unused:UNUSED_PAD src0_sel:DWORD src1_sel:BYTE_0
	;; [unrolled: 1-line block ×6, first 2 shown]
	v_add3_u32 v92, 0, v37, v62
	v_add3_u32 v76, 0, v76, v62
	;; [unrolled: 1-line block ×6, first 2 shown]
	v_add_nc_u32_e32 v88, 0x200, v89
	v_add_nc_u32_e32 v95, 0x400, v90
	;; [unrolled: 1-line block ×3, first 2 shown]
	v_mul_f32_e32 v37, v67, v1
	v_mul_f32_e32 v97, v39, v1
	;; [unrolled: 1-line block ×8, first 2 shown]
	v_fmac_f32_e32 v37, v39, v0
	v_fma_f32 v39, v67, v0, -v97
	v_fmac_f32_e32 v98, v47, v2
	v_fma_f32 v19, v19, v2, -v99
	v_fmac_f32_e32 v100, v58, v0
	v_fmac_f32_e32 v101, v56, v2
	v_fma_f32 v0, v70, v0, -v1
	v_fma_f32 v1, v72, v2, -v3
	v_add_f32_e32 v3, v37, v98
	v_sub_f32_e32 v47, v39, v19
	v_add_f32_e32 v56, v93, v39
	v_add_f32_e32 v39, v39, v19
	;; [unrolled: 1-line block ×5, first 2 shown]
	v_sub_f32_e32 v70, v0, v1
	v_add_f32_e32 v72, v68, v0
	v_add_f32_e32 v0, v0, v1
	v_fmac_f32_e32 v20, -0.5, v3
	v_add_f32_e32 v3, v56, v19
	v_fmac_f32_e32 v93, -0.5, v39
	v_fma_f32 v39, -0.5, v67, v44
	v_mul_f32_e32 v44, v71, v5
	v_mul_f32_e32 v56, v73, v7
	v_sub_f32_e32 v37, v37, v98
	v_add_f32_e32 v19, v58, v101
	v_mul_f32_e32 v58, v78, v9
	v_mul_f32_e32 v67, v80, v11
	v_sub_f32_e32 v97, v100, v101
	v_add_f32_e32 v2, v2, v98
	v_add_f32_e32 v1, v72, v1
	v_fma_f32 v0, -0.5, v0, v68
	v_mul_f32_e32 v5, v59, v5
	v_mul_f32_e32 v7, v57, v7
	;; [unrolled: 1-line block ×16, first 2 shown]
	v_fmamk_f32 v104, v47, 0xbf5db3d7, v20
	v_fmac_f32_e32 v44, v59, v4
	v_fmac_f32_e32 v56, v57, v6
	;; [unrolled: 1-line block ×3, first 2 shown]
	v_mul_f32_e32 v28, v48, v28
	v_fmamk_f32 v47, v37, 0x3f5db3d7, v93
	v_fmac_f32_e32 v93, 0xbf5db3d7, v37
	v_fmamk_f32 v37, v70, 0xbf5db3d7, v39
	v_fmac_f32_e32 v39, 0x3f5db3d7, v70
	v_fmac_f32_e32 v58, v54, v8
	;; [unrolled: 1-line block ×3, first 2 shown]
	v_mul_f32_e32 v26, v50, v26
	v_mul_f32_e32 v30, v51, v30
	;; [unrolled: 1-line block ×3, first 2 shown]
	v_fma_f32 v4, v71, v4, -v5
	v_fma_f32 v5, v73, v6, -v7
	v_fmac_f32_e32 v68, v55, v21
	v_fmac_f32_e32 v72, v53, v23
	;; [unrolled: 1-line block ×8, first 2 shown]
	v_fma_f32 v6, v78, v8, -v9
	v_fma_f32 v7, v80, v10, -v11
	v_fma_f32 v8, v79, v21, -v22
	v_fma_f32 v9, v81, v23, -v24
	v_fma_f32 v18, v18, v33, -v34
	v_fma_f32 v23, v94, v35, -v36
	ds_write2_b32 v60, v2, v104 offset1:17
	ds_write2_b32 v60, v20, v19 offset0:34 offset1:51
	ds_write2_b32 v60, v37, v39 offset0:68 offset1:85
	v_add_f32_e32 v19, v44, v56
	v_fma_f32 v11, v86, v27, -v28
	v_add_f32_e32 v27, v58, v67
	v_fma_f32 v10, v84, v25, -v26
	v_fma_f32 v21, v85, v29, -v30
	v_fma_f32 v22, v87, v31, -v32
	v_sub_f32_e32 v20, v4, v5
	v_add_f32_e32 v24, v69, v4
	v_add_f32_e32 v4, v4, v5
	;; [unrolled: 1-line block ×8, first 2 shown]
	v_sub_f32_e32 v28, v6, v7
	v_add_f32_e32 v29, v74, v6
	v_add_f32_e32 v6, v6, v7
	v_sub_f32_e32 v33, v8, v9
	v_add_f32_e32 v34, v75, v8
	v_add_f32_e32 v8, v8, v9
	;; [unrolled: 3-line block ×3, first 2 shown]
	v_fmac_f32_e32 v45, -0.5, v19
	v_fma_f32 v19, -0.5, v27, v42
	v_sub_f32_e32 v25, v44, v56
	v_add_f32_e32 v31, v43, v68
	v_sub_f32_e32 v39, v10, v11
	v_add_f32_e32 v44, v82, v10
	v_add_f32_e32 v48, v41, v100
	v_sub_f32_e32 v50, v21, v22
	v_add_f32_e32 v51, v83, v21
	v_add_f32_e32 v21, v21, v22
	;; [unrolled: 1-line block ×3, first 2 shown]
	v_fmac_f32_e32 v69, -0.5, v4
	v_add_f32_e32 v4, v26, v67
	v_fmac_f32_e32 v43, -0.5, v32
	v_fma_f32 v26, -0.5, v37, v40
	v_fmac_f32_e32 v41, -0.5, v49
	v_fmac_f32_e32 v38, -0.5, v54
	v_sub_f32_e32 v30, v58, v67
	v_sub_f32_e32 v35, v68, v72
	v_add_f32_e32 v36, v40, v98
	v_add_f32_e32 v2, v2, v56
	v_fma_f32 v6, -0.5, v6, v74
	v_fmac_f32_e32 v75, -0.5, v8
	v_fmac_f32_e32 v66, -0.5, v18
	v_fmamk_f32 v18, v20, 0xbf5db3d7, v45
	v_fmac_f32_e32 v45, 0x3f5db3d7, v20
	v_fmamk_f32 v20, v28, 0xbf5db3d7, v19
	v_fmac_f32_e32 v19, 0x3f5db3d7, v28
	v_add_f32_e32 v10, v10, v11
	v_add_f32_e32 v5, v24, v5
	;; [unrolled: 1-line block ×6, first 2 shown]
	v_fmac_f32_e32 v83, -0.5, v21
	v_add_f32_e32 v21, v53, v103
	v_add_f32_e32 v44, v57, v23
	v_fmamk_f32 v48, v25, 0x3f5db3d7, v69
	v_fmac_f32_e32 v69, 0xbf5db3d7, v25
	v_fmamk_f32 v22, v33, 0xbf5db3d7, v43
	v_fmamk_f32 v23, v39, 0xbf5db3d7, v26
	v_fmac_f32_e32 v26, 0x3f5db3d7, v39
	v_fmamk_f32 v25, v50, 0xbf5db3d7, v41
	v_fmac_f32_e32 v41, 0x3f5db3d7, v50
	;; [unrolled: 2-line block ×3, first 2 shown]
	v_add_f32_e32 v7, v29, v7
	v_add_f32_e32 v9, v34, v9
	;; [unrolled: 1-line block ×3, first 2 shown]
	v_fmamk_f32 v49, v30, 0x3f5db3d7, v6
	v_fmac_f32_e32 v6, 0xbf5db3d7, v30
	v_fmac_f32_e32 v43, 0x3f5db3d7, v33
	v_fmamk_f32 v51, v35, 0x3f5db3d7, v75
	v_fmac_f32_e32 v75, 0xbf5db3d7, v35
	ds_write2_b32 v92, v2, v18 offset0:102 offset1:119
	ds_write_b32 v92, v45 offset:544
	ds_write2_b32 v76, v4, v20 offset0:153 offset1:170
	ds_write_b32 v76, v19 offset:748
	ds_write2_b32 v62, v24, v22 offset0:204 offset1:221
	ds_write_b32 v62, v43 offset:952
	ds_write2_b32 v88, v8, v23 offset0:127 offset1:144
	ds_write_b32 v89, v26 offset:1156
	ds_write2_b32 v95, v27, v25 offset0:50 offset1:67
	ds_write_b32 v90, v41 offset:1360
	ds_write2_b32 v96, v21, v28 offset0:101 offset1:118
	ds_write_b32 v91, v38 offset:1564
	s_waitcnt lgkmcnt(0)
	s_barrier
	buffer_gl0_inv
	ds_read2_b32 v[20:21], v60 offset0:51 offset1:68
	ds_read2_b32 v[36:37], v60 offset0:85 offset1:102
	;; [unrolled: 1-line block ×11, first 2 shown]
	ds_read_b32 v40, v61
	ds_read_b32 v41, v60 offset:1564
	v_sub_f32_e32 v46, v98, v99
	v_sub_f32_e32 v52, v100, v101
	;; [unrolled: 1-line block ×3, first 2 shown]
	v_fma_f32 v10, -0.5, v10, v82
	v_fmamk_f32 v70, v97, 0x3f5db3d7, v0
	v_fmac_f32_e32 v0, 0xbf5db3d7, v97
	s_waitcnt lgkmcnt(0)
	v_fmamk_f32 v50, v58, 0x3f5db3d7, v66
	v_fmamk_f32 v53, v46, 0x3f5db3d7, v10
	v_fmac_f32_e32 v10, 0xbf5db3d7, v46
	v_fmamk_f32 v46, v52, 0x3f5db3d7, v83
	v_fmac_f32_e32 v83, 0xbf5db3d7, v52
	v_fmac_f32_e32 v66, 0xbf5db3d7, v58
	s_barrier
	buffer_gl0_inv
	ds_write2_b32 v60, v3, v47 offset1:17
	ds_write2_b32 v60, v93, v1 offset0:34 offset1:51
	ds_write2_b32 v60, v70, v0 offset0:68 offset1:85
	;; [unrolled: 1-line block ×3, first 2 shown]
	ds_write_b32 v92, v69 offset:544
	ds_write2_b32 v76, v7, v49 offset0:153 offset1:170
	ds_write_b32 v76, v6 offset:748
	ds_write2_b32 v62, v9, v51 offset0:204 offset1:221
	;; [unrolled: 2-line block ×5, first 2 shown]
	ds_write_b32 v91, v66 offset:1564
	s_waitcnt lgkmcnt(0)
	s_barrier
	buffer_gl0_inv
	s_and_saveexec_b32 s0, vcc_lo
	s_cbranch_execz .LBB0_20
; %bb.19:
	v_mul_u32_u24_e32 v0, 7, v16
	v_mul_u32_u24_e32 v43, 7, v77
	v_mad_u32_u24 v16, v16, 7, 0xffffff89
	v_mul_lo_u32 v76, s2, v15
	v_add_nc_u32_e32 v96, 17, v77
	v_lshlrev_b32_e32 v42, 3, v0
	v_lshlrev_b32_e32 v54, 3, v43
	v_mul_hi_u32 v93, 0xa0a0a0a1, v77
	v_add_nc_u32_e32 v97, 34, v77
	v_mul_hi_u32 v95, 0xa0a0a0a1, v96
	s_clause 0x7
	global_load_dwordx4 v[0:3], v42, s[12:13] offset:288
	global_load_dwordx4 v[8:11], v42, s[12:13] offset:272
	;; [unrolled: 1-line block ×3, first 2 shown]
	global_load_dwordx2 v[58:59], v42, s[12:13] offset:320
	global_load_dwordx4 v[42:45], v54, s[12:13] offset:288
	global_load_dwordx4 v[46:49], v54, s[12:13] offset:272
	;; [unrolled: 1-line block ×3, first 2 shown]
	global_load_dwordx2 v[70:71], v54, s[12:13] offset:320
	v_lshlrev_b64 v[54:55], 3, v[16:17]
	v_mul_lo_u32 v16, s3, v14
	v_mad_u64_u32 v[14:15], null, s2, v14, 0
	v_lshlrev_b64 v[12:13], 3, v[12:13]
	v_mul_hi_u32 v98, 0xa0a0a0a1, v97
	v_add_co_u32 v72, vcc_lo, s12, v54
	v_add_co_ci_u32_e32 v73, vcc_lo, s13, v55, vcc_lo
	s_clause 0x3
	global_load_dwordx4 v[54:57], v[72:73], off offset:288
	global_load_dwordx4 v[62:65], v[72:73], off offset:272
	;; [unrolled: 1-line block ×3, first 2 shown]
	global_load_dwordx2 v[72:73], v[72:73], off offset:320
	v_add3_u32 v15, v15, v76, v16
	v_lshrrev_b32_e32 v16, 5, v93
	v_lshrrev_b32_e32 v76, 5, v95
	;; [unrolled: 1-line block ×3, first 2 shown]
	v_add_nc_u32_e32 v94, 0x400, v60
	v_lshlrev_b64 v[14:15], 3, v[14:15]
	v_mul_lo_u32 v16, v16, 51
	v_mul_lo_u32 v99, v76, 51
	;; [unrolled: 1-line block ×3, first 2 shown]
	ds_read2_b32 v[74:75], v60 offset0:17 offset1:34
	ds_read2_b32 v[78:79], v60 offset0:221 offset1:238
	;; [unrolled: 1-line block ×6, first 2 shown]
	v_add_co_u32 v101, vcc_lo, s10, v14
	v_add_co_ci_u32_e32 v15, vcc_lo, s11, v15, vcc_lo
	v_sub_nc_u32_e32 v16, v77, v16
	v_add_co_u32 v114, vcc_lo, v101, v12
	v_sub_nc_u32_e32 v14, v96, v99
	v_add_co_ci_u32_e32 v115, vcc_lo, v15, v13, vcc_lo
	v_lshlrev_b32_e32 v15, 3, v16
	v_sub_nc_u32_e32 v12, v97, v100
	v_add_nc_u32_e32 v92, 0x200, v60
	ds_read2_b32 v[88:89], v60 offset0:153 offset1:170
	ds_read_b32 v112, v60 offset:1564
	ds_read_b32 v113, v61
	v_mad_u64_u32 v[13:14], null, 0x198, v76, v[14:15]
	v_mov_b32_e32 v14, v17
	v_add_co_u32 v76, vcc_lo, v114, v15
	v_add_co_ci_u32_e32 v77, vcc_lo, 0, v115, vcc_lo
	ds_read2_b32 v[60:61], v94 offset0:67 offset1:84
	ds_read2_b32 v[90:91], v94 offset0:33 offset1:50
	v_add_nc_u32_e32 v16, 51, v13
	v_lshlrev_b64 v[14:15], 3, v[13:14]
	v_mad_u64_u32 v[96:97], null, 0x198, v98, v[12:13]
	v_add_co_u32 v98, vcc_lo, 0x800, v76
	v_lshlrev_b64 v[100:101], 3, v[16:17]
	v_add_nc_u32_e32 v16, 0x66, v13
	v_add_co_ci_u32_e32 v99, vcc_lo, 0, v77, vcc_lo
	v_add_co_u32 v14, vcc_lo, v114, v14
	v_lshlrev_b64 v[102:103], 3, v[16:17]
	v_add_nc_u32_e32 v16, 0x99, v13
	ds_read2_b32 v[92:93], v92 offset0:127 offset1:144
	v_add_co_ci_u32_e32 v15, vcc_lo, v115, v15, vcc_lo
	v_add_co_u32 v100, vcc_lo, v114, v100
	v_lshlrev_b64 v[104:105], 3, v[16:17]
	v_add_nc_u32_e32 v16, 0xcc, v13
	v_add_co_ci_u32_e32 v101, vcc_lo, v115, v101, vcc_lo
	v_add_co_u32 v102, vcc_lo, v114, v102
	v_lshlrev_b64 v[106:107], 3, v[16:17]
	v_add_nc_u32_e32 v16, 0xff, v13
	ds_read2_b32 v[94:95], v94 offset0:101 offset1:118
	v_add_co_ci_u32_e32 v103, vcc_lo, v115, v103, vcc_lo
	v_add_co_u32 v104, vcc_lo, v114, v104
	v_lshlrev_b64 v[108:109], 3, v[16:17]
	v_add_nc_u32_e32 v16, 0x132, v13
	v_add_co_ci_u32_e32 v105, vcc_lo, v115, v105, vcc_lo
	v_add_co_u32 v106, vcc_lo, v114, v106
	v_lshlrev_b64 v[110:111], 3, v[16:17]
	v_add_nc_u32_e32 v16, 0x165, v13
	v_add_co_ci_u32_e32 v107, vcc_lo, v115, v107, vcc_lo
	v_add_co_u32 v12, vcc_lo, v114, v108
	v_add_co_ci_u32_e32 v13, vcc_lo, v115, v109, vcc_lo
	v_lshlrev_b64 v[108:109], 3, v[16:17]
	v_mov_b32_e32 v97, v17
	v_add_co_u32 v110, vcc_lo, v114, v110
	v_add_co_ci_u32_e32 v111, vcc_lo, v115, v111, vcc_lo
	s_waitcnt vmcnt(11)
	v_mul_f32_e32 v16, v25, v3
	s_waitcnt vmcnt(10)
	v_mul_f32_e32 v116, v29, v10
	v_mul_f32_e32 v118, v36, v9
	s_waitcnt lgkmcnt(9)
	v_mul_f32_e32 v9, v82, v9
	v_mul_f32_e32 v29, v29, v11
	s_waitcnt vmcnt(9)
	v_mul_f32_e32 v117, v31, v6
	v_mul_f32_e32 v119, v38, v5
	;; [unrolled: 1-line block ×3, first 2 shown]
	v_fmac_f32_e32 v116, v81, v11
	v_fma_f32 v11, v82, v8, -v118
	v_fmac_f32_e32 v9, v36, v8
	v_fma_f32 v8, v81, v10, -v29
	v_mul_f32_e32 v29, v34, v1
	s_waitcnt lgkmcnt(2)
	v_mul_f32_e32 v5, v90, v5
	v_mul_f32_e32 v31, v31, v7
	;; [unrolled: 1-line block ×3, first 2 shown]
	s_waitcnt vmcnt(8)
	v_mul_f32_e32 v10, v41, v58
	v_mul_f32_e32 v34, v41, v59
	v_fmac_f32_e32 v117, v61, v7
	v_fma_f32 v7, v90, v4, -v119
	v_fmac_f32_e32 v5, v38, v4
	v_fma_f32 v4, v61, v6, -v31
	s_waitcnt vmcnt(7)
	v_mul_f32_e32 v6, v35, v45
	s_waitcnt vmcnt(6)
	v_mul_f32_e32 v31, v37, v48
	;; [unrolled: 2-line block ×3, first 2 shown]
	v_fma_f32 v16, v79, v2, -v16
	v_fmac_f32_e32 v120, v84, v1
	v_fma_f32 v0, v84, v0, -v29
	v_fmac_f32_e32 v3, v25, v2
	v_mul_f32_e32 v1, v20, v47
	v_mul_f32_e32 v2, v22, v51
	;; [unrolled: 1-line block ×3, first 2 shown]
	s_waitcnt vmcnt(4)
	v_mul_f32_e32 v29, v32, v70
	v_mul_f32_e32 v26, v26, v43
	v_mul_f32_e32 v32, v32, v71
	v_mul_f32_e32 v38, v86, v47
	v_mul_f32_e32 v37, v37, v49
	s_waitcnt lgkmcnt(1)
	v_mul_f32_e32 v41, v92, v51
	v_mul_f32_e32 v39, v39, v53
	;; [unrolled: 1-line block ×3, first 2 shown]
	v_fmac_f32_e32 v10, v112, v59
	v_fma_f32 v34, v112, v58, -v34
	v_fma_f32 v6, v85, v44, -v6
	v_fmac_f32_e32 v31, v83, v49
	v_fmac_f32_e32 v36, v91, v53
	v_fma_f32 v1, v86, v46, -v1
	v_fma_f32 v2, v92, v50, -v2
	v_fmac_f32_e32 v25, v88, v43
	s_waitcnt lgkmcnt(0)
	v_fmac_f32_e32 v29, v94, v71
	v_fma_f32 v26, v88, v42, -v26
	v_fma_f32 v32, v94, v70, -v32
	v_fmac_f32_e32 v38, v20, v46
	v_fmac_f32_e32 v41, v22, v50
	v_fma_f32 v20, v83, v48, -v37
	v_fma_f32 v22, v91, v52, -v39
	v_fmac_f32_e32 v45, v35, v44
	s_waitcnt vmcnt(3)
	v_mul_f32_e32 v35, v24, v57
	s_waitcnt vmcnt(2)
	v_mul_f32_e32 v37, v28, v64
	s_waitcnt vmcnt(1)
	v_mul_f32_e32 v39, v30, v68
	v_mul_f32_e32 v42, v21, v63
	v_mul_f32_e32 v43, v23, v67
	;; [unrolled: 1-line block ×3, first 2 shown]
	s_waitcnt vmcnt(0)
	v_mul_f32_e32 v46, v33, v72
	v_mul_f32_e32 v27, v27, v55
	;; [unrolled: 1-line block ×8, first 2 shown]
	v_sub_f32_e32 v16, v75, v16
	v_sub_f32_e32 v50, v116, v117
	;; [unrolled: 1-line block ×16, first 2 shown]
	v_fma_f32 v35, v78, v56, -v35
	v_fmac_f32_e32 v37, v80, v65
	v_fmac_f32_e32 v39, v60, v69
	v_fma_f32 v42, v87, v62, -v42
	v_fma_f32 v43, v93, v66, -v43
	v_fmac_f32_e32 v44, v89, v55
	v_fmac_f32_e32 v46, v95, v73
	v_fma_f32 v27, v89, v54, -v27
	;; [unrolled: 4-line block ×3, first 2 shown]
	v_fma_f32 v23, v60, v68, -v30
	v_fmac_f32_e32 v49, v24, v56
	v_sub_f32_e32 v24, v16, v50
	v_sub_f32_e32 v28, v7, v10
	v_add_f32_e32 v30, v5, v34
	v_add_f32_e32 v45, v3, v4
	v_fma_f32 v52, v75, 2.0, -v16
	v_fma_f32 v4, v8, 2.0, -v4
	;; [unrolled: 1-line block ×8, first 2 shown]
	v_sub_f32_e32 v50, v6, v36
	v_sub_f32_e32 v53, v51, v2
	v_add_f32_e32 v54, v32, v29
	v_add_f32_e32 v55, v41, v22
	v_fma_f32 v56, v113, 2.0, -v6
	v_fma_f32 v20, v20, 2.0, -v22
	v_fma_f32 v22, v38, 2.0, -v32
	v_fma_f32 v25, v25, 2.0, -v2
	v_fma_f32 v38, v40, 2.0, -v41
	v_fma_f32 v31, v31, 2.0, -v36
	v_fma_f32 v36, v1, 2.0, -v51
	v_fma_f32 v26, v26, 2.0, -v29
	v_sub_f32_e32 v29, v74, v35
	v_sub_f32_e32 v35, v37, v39
	;; [unrolled: 1-line block ×8, first 2 shown]
	v_fmamk_f32 v1, v28, 0x3f3504f3, v24
	v_fmamk_f32 v0, v30, 0x3f3504f3, v45
	v_sub_f32_e32 v48, v52, v4
	v_sub_f32_e32 v9, v8, v9
	;; [unrolled: 1-line block ×4, first 2 shown]
	v_fma_f32 v58, v3, 2.0, -v45
	v_fmamk_f32 v3, v53, 0x3f3504f3, v50
	v_fmamk_f32 v2, v54, 0x3f3504f3, v55
	v_sub_f32_e32 v59, v56, v20
	v_sub_f32_e32 v20, v22, v25
	;; [unrolled: 1-line block ×6, first 2 shown]
	v_add_f32_e32 v64, v46, v23
	v_fma_f32 v65, v74, 2.0, -v29
	v_fma_f32 v21, v21, 2.0, -v23
	;; [unrolled: 1-line block ×12, first 2 shown]
	v_add_f32_e32 v63, v43, v33
	v_fma_f32 v16, v16, 2.0, -v24
	v_fma_f32 v34, v7, 2.0, -v28
	v_fma_f32 v57, v5, 2.0, -v30
	v_fmac_f32_e32 v1, 0xbf3504f3, v30
	v_fmac_f32_e32 v0, 0x3f3504f3, v28
	v_sub_f32_e32 v5, v48, v9
	v_fma_f32 v37, v52, 2.0, -v48
	v_fma_f32 v28, v11, 2.0, -v19
	;; [unrolled: 1-line block ×4, first 2 shown]
	v_fmac_f32_e32 v3, 0xbf3504f3, v54
	v_fmac_f32_e32 v2, 0x3f3504f3, v53
	v_sub_f32_e32 v9, v59, v20
	v_add_f32_e32 v8, v31, v25
	v_fma_f32 v44, v56, 2.0, -v59
	v_fma_f32 v33, v36, 2.0, -v25
	;; [unrolled: 1-line block ×4, first 2 shown]
	v_sub_f32_e32 v52, v65, v21
	v_sub_f32_e32 v53, v47, v23
	;; [unrolled: 1-line block ×4, first 2 shown]
	v_fmamk_f32 v11, v51, 0xbf3504f3, v60
	v_fmamk_f32 v10, v32, 0xbf3504f3, v41
	v_fma_f32 v66, v29, 2.0, -v61
	v_fma_f32 v67, v39, 2.0, -v62
	;; [unrolled: 1-line block ×4, first 2 shown]
	v_add_f32_e32 v4, v49, v19
	v_fmamk_f32 v7, v34, 0xbf3504f3, v16
	v_fmamk_f32 v19, v62, 0x3f3504f3, v61
	;; [unrolled: 1-line block ×3, first 2 shown]
	v_fma_f32 v21, v24, 2.0, -v1
	v_fma_f32 v20, v45, 2.0, -v0
	;; [unrolled: 1-line block ×3, first 2 shown]
	v_sub_f32_e32 v25, v37, v28
	v_sub_f32_e32 v24, v42, v30
	v_fma_f32 v29, v59, 2.0, -v9
	v_fma_f32 v28, v31, 2.0, -v8
	v_sub_f32_e32 v31, v44, v33
	v_sub_f32_e32 v30, v38, v36
	v_fma_f32 v45, v65, 2.0, -v52
	v_fma_f32 v48, v35, 2.0, -v56
	;; [unrolled: 1-line block ×6, first 2 shown]
	v_fmac_f32_e32 v11, 0xbf3504f3, v32
	v_fmac_f32_e32 v10, 0x3f3504f3, v51
	global_store_dwordx2 v[98:99], v[8:9], off offset:400
	global_store_dwordx2 v[98:99], v[2:3], off offset:808
	v_fmamk_f32 v9, v67, 0xbf3504f3, v66
	v_fmamk_f32 v8, v43, 0xbf3504f3, v46
	v_sub_f32_e32 v3, v52, v53
	v_add_f32_e32 v2, v54, v56
	v_fmac_f32_e32 v7, 0xbf3504f3, v57
	v_fmac_f32_e32 v19, 0xbf3504f3, v63
	;; [unrolled: 1-line block ×3, first 2 shown]
	v_fma_f32 v39, v44, 2.0, -v31
	v_fma_f32 v38, v38, 2.0, -v30
	global_store_dwordx2 v[76:77], v[28:29], off offset:816
	global_store_dwordx2 v[76:77], v[26:27], off offset:1224
	;; [unrolled: 1-line block ×4, first 2 shown]
	v_sub_f32_e32 v29, v45, v48
	v_sub_f32_e32 v28, v40, v47
	v_fma_f32 v35, v37, 2.0, -v25
	v_fma_f32 v37, v60, 2.0, -v11
	;; [unrolled: 1-line block ×3, first 2 shown]
	v_fmac_f32_e32 v9, 0xbf3504f3, v43
	v_fmac_f32_e32 v8, 0x3f3504f3, v67
	v_fma_f32 v27, v52, 2.0, -v3
	v_fma_f32 v26, v54, 2.0, -v2
	;; [unrolled: 1-line block ×5, first 2 shown]
	v_add_nc_u32_e32 v16, 51, v96
	global_store_dwordx2 v[76:77], v[38:39], off
	global_store_dwordx2 v[76:77], v[36:37], off offset:408
	v_fma_f32 v37, v45, 2.0, -v29
	v_fma_f32 v36, v40, 2.0, -v28
	;; [unrolled: 1-line block ×4, first 2 shown]
	global_store_dwordx2 v[102:103], v[26:27], off
	global_store_dwordx2 v[104:105], v[10:11], off
	;; [unrolled: 1-line block ×7, first 2 shown]
	v_lshlrev_b64 v[2:3], 3, v[96:97]
	v_lshlrev_b64 v[10:11], 3, v[16:17]
	v_add_nc_u32_e32 v16, 0x66, v96
	v_fmamk_f32 v6, v57, 0xbf3504f3, v58
	v_add_co_u32 v8, vcc_lo, v114, v108
	v_add_co_ci_u32_e32 v9, vcc_lo, v115, v109, vcc_lo
	v_add_co_u32 v2, vcc_lo, v114, v2
	v_lshlrev_b64 v[12:13], 3, v[16:17]
	v_add_nc_u32_e32 v16, 0x99, v96
	v_fmac_f32_e32 v6, 0x3f3504f3, v34
	v_add_co_ci_u32_e32 v3, vcc_lo, v115, v3, vcc_lo
	v_add_co_u32 v10, vcc_lo, v114, v10
	v_add_co_ci_u32_e32 v11, vcc_lo, v115, v11, vcc_lo
	v_lshlrev_b64 v[14:15], 3, v[16:17]
	v_add_nc_u32_e32 v16, 0xcc, v96
	v_fma_f32 v34, v42, 2.0, -v24
	v_add_co_u32 v12, vcc_lo, v114, v12
	v_fma_f32 v32, v58, 2.0, -v6
	v_fma_f32 v22, v49, 2.0, -v4
	v_add_co_ci_u32_e32 v13, vcc_lo, v115, v13, vcc_lo
	global_store_dwordx2 v[8:9], v[18:19], off
	global_store_dwordx2 v[2:3], v[34:35], off
	;; [unrolled: 1-line block ×4, first 2 shown]
	v_lshlrev_b64 v[2:3], 3, v[16:17]
	v_add_nc_u32_e32 v16, 0xff, v96
	v_add_co_u32 v8, vcc_lo, v114, v14
	v_add_co_ci_u32_e32 v9, vcc_lo, v115, v15, vcc_lo
	v_lshlrev_b64 v[10:11], 3, v[16:17]
	v_add_nc_u32_e32 v16, 0x132, v96
	v_add_co_u32 v2, vcc_lo, v114, v2
	v_add_co_ci_u32_e32 v3, vcc_lo, v115, v3, vcc_lo
	;; [unrolled: 4-line block ×3, first 2 shown]
	v_lshlrev_b64 v[14:15], 3, v[16:17]
	v_add_co_u32 v12, vcc_lo, v114, v12
	v_add_co_ci_u32_e32 v13, vcc_lo, v115, v13, vcc_lo
	v_add_co_u32 v14, vcc_lo, v114, v14
	v_add_co_ci_u32_e32 v15, vcc_lo, v115, v15, vcc_lo
	global_store_dwordx2 v[8:9], v[20:21], off
	global_store_dwordx2 v[2:3], v[24:25], off
	;; [unrolled: 1-line block ×5, first 2 shown]
.LBB0_20:
	s_endpgm
	.section	.rodata,"a",@progbits
	.p2align	6, 0x0
	.amdhsa_kernel fft_rtc_back_len408_factors_17_3_8_wgs_51_tpt_17_halfLds_sp_op_CI_CI_unitstride_sbrr_dirReg
		.amdhsa_group_segment_fixed_size 0
		.amdhsa_private_segment_fixed_size 0
		.amdhsa_kernarg_size 104
		.amdhsa_user_sgpr_count 6
		.amdhsa_user_sgpr_private_segment_buffer 1
		.amdhsa_user_sgpr_dispatch_ptr 0
		.amdhsa_user_sgpr_queue_ptr 0
		.amdhsa_user_sgpr_kernarg_segment_ptr 1
		.amdhsa_user_sgpr_dispatch_id 0
		.amdhsa_user_sgpr_flat_scratch_init 0
		.amdhsa_user_sgpr_private_segment_size 0
		.amdhsa_wavefront_size32 1
		.amdhsa_uses_dynamic_stack 0
		.amdhsa_system_sgpr_private_segment_wavefront_offset 0
		.amdhsa_system_sgpr_workgroup_id_x 1
		.amdhsa_system_sgpr_workgroup_id_y 0
		.amdhsa_system_sgpr_workgroup_id_z 0
		.amdhsa_system_sgpr_workgroup_info 0
		.amdhsa_system_vgpr_workitem_id 0
		.amdhsa_next_free_vgpr 121
		.amdhsa_next_free_sgpr 27
		.amdhsa_reserve_vcc 1
		.amdhsa_reserve_flat_scratch 0
		.amdhsa_float_round_mode_32 0
		.amdhsa_float_round_mode_16_64 0
		.amdhsa_float_denorm_mode_32 3
		.amdhsa_float_denorm_mode_16_64 3
		.amdhsa_dx10_clamp 1
		.amdhsa_ieee_mode 1
		.amdhsa_fp16_overflow 0
		.amdhsa_workgroup_processor_mode 1
		.amdhsa_memory_ordered 1
		.amdhsa_forward_progress 0
		.amdhsa_shared_vgpr_count 0
		.amdhsa_exception_fp_ieee_invalid_op 0
		.amdhsa_exception_fp_denorm_src 0
		.amdhsa_exception_fp_ieee_div_zero 0
		.amdhsa_exception_fp_ieee_overflow 0
		.amdhsa_exception_fp_ieee_underflow 0
		.amdhsa_exception_fp_ieee_inexact 0
		.amdhsa_exception_int_div_zero 0
	.end_amdhsa_kernel
	.text
.Lfunc_end0:
	.size	fft_rtc_back_len408_factors_17_3_8_wgs_51_tpt_17_halfLds_sp_op_CI_CI_unitstride_sbrr_dirReg, .Lfunc_end0-fft_rtc_back_len408_factors_17_3_8_wgs_51_tpt_17_halfLds_sp_op_CI_CI_unitstride_sbrr_dirReg
                                        ; -- End function
	.section	.AMDGPU.csdata,"",@progbits
; Kernel info:
; codeLenInByte = 16444
; NumSgprs: 29
; NumVgprs: 121
; ScratchSize: 0
; MemoryBound: 0
; FloatMode: 240
; IeeeMode: 1
; LDSByteSize: 0 bytes/workgroup (compile time only)
; SGPRBlocks: 3
; VGPRBlocks: 15
; NumSGPRsForWavesPerEU: 29
; NumVGPRsForWavesPerEU: 121
; Occupancy: 8
; WaveLimiterHint : 1
; COMPUTE_PGM_RSRC2:SCRATCH_EN: 0
; COMPUTE_PGM_RSRC2:USER_SGPR: 6
; COMPUTE_PGM_RSRC2:TRAP_HANDLER: 0
; COMPUTE_PGM_RSRC2:TGID_X_EN: 1
; COMPUTE_PGM_RSRC2:TGID_Y_EN: 0
; COMPUTE_PGM_RSRC2:TGID_Z_EN: 0
; COMPUTE_PGM_RSRC2:TIDIG_COMP_CNT: 0
	.text
	.p2alignl 6, 3214868480
	.fill 48, 4, 3214868480
	.type	__hip_cuid_ae8f19cd8bc1830f,@object ; @__hip_cuid_ae8f19cd8bc1830f
	.section	.bss,"aw",@nobits
	.globl	__hip_cuid_ae8f19cd8bc1830f
__hip_cuid_ae8f19cd8bc1830f:
	.byte	0                               ; 0x0
	.size	__hip_cuid_ae8f19cd8bc1830f, 1

	.ident	"AMD clang version 19.0.0git (https://github.com/RadeonOpenCompute/llvm-project roc-6.4.0 25133 c7fe45cf4b819c5991fe208aaa96edf142730f1d)"
	.section	".note.GNU-stack","",@progbits
	.addrsig
	.addrsig_sym __hip_cuid_ae8f19cd8bc1830f
	.amdgpu_metadata
---
amdhsa.kernels:
  - .args:
      - .actual_access:  read_only
        .address_space:  global
        .offset:         0
        .size:           8
        .value_kind:     global_buffer
      - .offset:         8
        .size:           8
        .value_kind:     by_value
      - .actual_access:  read_only
        .address_space:  global
        .offset:         16
        .size:           8
        .value_kind:     global_buffer
      - .actual_access:  read_only
        .address_space:  global
        .offset:         24
        .size:           8
        .value_kind:     global_buffer
      - .actual_access:  read_only
        .address_space:  global
        .offset:         32
        .size:           8
        .value_kind:     global_buffer
      - .offset:         40
        .size:           8
        .value_kind:     by_value
      - .actual_access:  read_only
        .address_space:  global
        .offset:         48
        .size:           8
        .value_kind:     global_buffer
      - .actual_access:  read_only
        .address_space:  global
        .offset:         56
        .size:           8
        .value_kind:     global_buffer
      - .offset:         64
        .size:           4
        .value_kind:     by_value
      - .actual_access:  read_only
        .address_space:  global
        .offset:         72
        .size:           8
        .value_kind:     global_buffer
      - .actual_access:  read_only
        .address_space:  global
        .offset:         80
        .size:           8
        .value_kind:     global_buffer
      - .actual_access:  read_only
        .address_space:  global
        .offset:         88
        .size:           8
        .value_kind:     global_buffer
      - .actual_access:  write_only
        .address_space:  global
        .offset:         96
        .size:           8
        .value_kind:     global_buffer
    .group_segment_fixed_size: 0
    .kernarg_segment_align: 8
    .kernarg_segment_size: 104
    .language:       OpenCL C
    .language_version:
      - 2
      - 0
    .max_flat_workgroup_size: 51
    .name:           fft_rtc_back_len408_factors_17_3_8_wgs_51_tpt_17_halfLds_sp_op_CI_CI_unitstride_sbrr_dirReg
    .private_segment_fixed_size: 0
    .sgpr_count:     29
    .sgpr_spill_count: 0
    .symbol:         fft_rtc_back_len408_factors_17_3_8_wgs_51_tpt_17_halfLds_sp_op_CI_CI_unitstride_sbrr_dirReg.kd
    .uniform_work_group_size: 1
    .uses_dynamic_stack: false
    .vgpr_count:     121
    .vgpr_spill_count: 0
    .wavefront_size: 32
    .workgroup_processor_mode: 1
amdhsa.target:   amdgcn-amd-amdhsa--gfx1030
amdhsa.version:
  - 1
  - 2
...

	.end_amdgpu_metadata
